;; amdgpu-corpus repo=ROCm/rocFFT kind=compiled arch=gfx1030 opt=O3
	.text
	.amdgcn_target "amdgcn-amd-amdhsa--gfx1030"
	.amdhsa_code_object_version 6
	.protected	fft_rtc_fwd_len1785_factors_17_3_5_7_wgs_119_tpt_119_halfLds_half_op_CI_CI_unitstride_sbrr_dirReg ; -- Begin function fft_rtc_fwd_len1785_factors_17_3_5_7_wgs_119_tpt_119_halfLds_half_op_CI_CI_unitstride_sbrr_dirReg
	.globl	fft_rtc_fwd_len1785_factors_17_3_5_7_wgs_119_tpt_119_halfLds_half_op_CI_CI_unitstride_sbrr_dirReg
	.p2align	8
	.type	fft_rtc_fwd_len1785_factors_17_3_5_7_wgs_119_tpt_119_halfLds_half_op_CI_CI_unitstride_sbrr_dirReg,@function
fft_rtc_fwd_len1785_factors_17_3_5_7_wgs_119_tpt_119_halfLds_half_op_CI_CI_unitstride_sbrr_dirReg: ; @fft_rtc_fwd_len1785_factors_17_3_5_7_wgs_119_tpt_119_halfLds_half_op_CI_CI_unitstride_sbrr_dirReg
; %bb.0:
	s_clause 0x2
	s_load_dwordx4 s[8:11], s[4:5], 0x0
	s_load_dwordx4 s[12:15], s[4:5], 0x58
	;; [unrolled: 1-line block ×3, first 2 shown]
	v_mul_u32_u24_e32 v1, 0x227, v0
	v_mov_b32_e32 v6, 0
	v_add_nc_u32_sdwa v10, s6, v1 dst_sel:DWORD dst_unused:UNUSED_PAD src0_sel:DWORD src1_sel:WORD_1
	v_mov_b32_e32 v1, 0
	v_mov_b32_e32 v11, v6
	v_mov_b32_e32 v2, 0
	s_waitcnt lgkmcnt(0)
	v_cmp_lt_u64_e64 s0, s[10:11], 2
	s_and_b32 vcc_lo, exec_lo, s0
	s_cbranch_vccnz .LBB0_8
; %bb.1:
	s_load_dwordx2 s[0:1], s[4:5], 0x10
	v_mov_b32_e32 v1, 0
	v_mov_b32_e32 v2, 0
	s_add_u32 s2, s18, 8
	s_addc_u32 s3, s19, 0
	s_add_u32 s6, s16, 8
	s_addc_u32 s7, s17, 0
	v_mov_b32_e32 v5, v2
	v_mov_b32_e32 v4, v1
	s_mov_b64 s[22:23], 1
	s_waitcnt lgkmcnt(0)
	s_add_u32 s20, s0, 8
	s_addc_u32 s21, s1, 0
.LBB0_2:                                ; =>This Inner Loop Header: Depth=1
	s_load_dwordx2 s[24:25], s[20:21], 0x0
                                        ; implicit-def: $vgpr8_vgpr9
	s_mov_b32 s0, exec_lo
	s_waitcnt lgkmcnt(0)
	v_or_b32_e32 v7, s25, v11
	v_cmpx_ne_u64_e32 0, v[6:7]
	s_xor_b32 s1, exec_lo, s0
	s_cbranch_execz .LBB0_4
; %bb.3:                                ;   in Loop: Header=BB0_2 Depth=1
	v_cvt_f32_u32_e32 v3, s24
	v_cvt_f32_u32_e32 v7, s25
	s_sub_u32 s0, 0, s24
	s_subb_u32 s26, 0, s25
	v_fmac_f32_e32 v3, 0x4f800000, v7
	v_rcp_f32_e32 v3, v3
	v_mul_f32_e32 v3, 0x5f7ffffc, v3
	v_mul_f32_e32 v7, 0x2f800000, v3
	v_trunc_f32_e32 v7, v7
	v_fmac_f32_e32 v3, 0xcf800000, v7
	v_cvt_u32_f32_e32 v7, v7
	v_cvt_u32_f32_e32 v3, v3
	v_mul_lo_u32 v8, s0, v7
	v_mul_hi_u32 v9, s0, v3
	v_mul_lo_u32 v12, s26, v3
	v_add_nc_u32_e32 v8, v9, v8
	v_mul_lo_u32 v9, s0, v3
	v_add_nc_u32_e32 v8, v8, v12
	v_mul_hi_u32 v12, v3, v9
	v_mul_lo_u32 v13, v3, v8
	v_mul_hi_u32 v14, v3, v8
	v_mul_hi_u32 v15, v7, v9
	v_mul_lo_u32 v9, v7, v9
	v_mul_hi_u32 v16, v7, v8
	v_mul_lo_u32 v8, v7, v8
	v_add_co_u32 v12, vcc_lo, v12, v13
	v_add_co_ci_u32_e32 v13, vcc_lo, 0, v14, vcc_lo
	v_add_co_u32 v9, vcc_lo, v12, v9
	v_add_co_ci_u32_e32 v9, vcc_lo, v13, v15, vcc_lo
	v_add_co_ci_u32_e32 v12, vcc_lo, 0, v16, vcc_lo
	v_add_co_u32 v8, vcc_lo, v9, v8
	v_add_co_ci_u32_e32 v9, vcc_lo, 0, v12, vcc_lo
	v_add_co_u32 v3, vcc_lo, v3, v8
	v_add_co_ci_u32_e32 v7, vcc_lo, v7, v9, vcc_lo
	v_mul_hi_u32 v8, s0, v3
	v_mul_lo_u32 v12, s26, v3
	v_mul_lo_u32 v9, s0, v7
	v_add_nc_u32_e32 v8, v8, v9
	v_mul_lo_u32 v9, s0, v3
	v_add_nc_u32_e32 v8, v8, v12
	v_mul_hi_u32 v12, v3, v9
	v_mul_lo_u32 v13, v3, v8
	v_mul_hi_u32 v14, v3, v8
	v_mul_hi_u32 v15, v7, v9
	v_mul_lo_u32 v9, v7, v9
	v_mul_hi_u32 v16, v7, v8
	v_mul_lo_u32 v8, v7, v8
	v_add_co_u32 v12, vcc_lo, v12, v13
	v_add_co_ci_u32_e32 v13, vcc_lo, 0, v14, vcc_lo
	v_add_co_u32 v9, vcc_lo, v12, v9
	v_add_co_ci_u32_e32 v9, vcc_lo, v13, v15, vcc_lo
	v_add_co_ci_u32_e32 v12, vcc_lo, 0, v16, vcc_lo
	v_add_co_u32 v8, vcc_lo, v9, v8
	v_add_co_ci_u32_e32 v9, vcc_lo, 0, v12, vcc_lo
	v_add_co_u32 v3, vcc_lo, v3, v8
	v_add_co_ci_u32_e32 v9, vcc_lo, v7, v9, vcc_lo
	v_mul_hi_u32 v16, v10, v3
	v_mad_u64_u32 v[12:13], null, v11, v3, 0
	v_mad_u64_u32 v[7:8], null, v10, v9, 0
	;; [unrolled: 1-line block ×3, first 2 shown]
	v_add_co_u32 v3, vcc_lo, v16, v7
	v_add_co_ci_u32_e32 v7, vcc_lo, 0, v8, vcc_lo
	v_add_co_u32 v3, vcc_lo, v3, v12
	v_add_co_ci_u32_e32 v3, vcc_lo, v7, v13, vcc_lo
	v_add_co_ci_u32_e32 v7, vcc_lo, 0, v15, vcc_lo
	v_add_co_u32 v3, vcc_lo, v3, v14
	v_add_co_ci_u32_e32 v9, vcc_lo, 0, v7, vcc_lo
	v_mul_lo_u32 v12, s25, v3
	v_mad_u64_u32 v[7:8], null, s24, v3, 0
	v_mul_lo_u32 v13, s24, v9
	v_sub_co_u32 v7, vcc_lo, v10, v7
	v_add3_u32 v8, v8, v13, v12
	v_sub_nc_u32_e32 v12, v11, v8
	v_subrev_co_ci_u32_e64 v12, s0, s25, v12, vcc_lo
	v_add_co_u32 v13, s0, v3, 2
	v_add_co_ci_u32_e64 v14, s0, 0, v9, s0
	v_sub_co_u32 v15, s0, v7, s24
	v_sub_co_ci_u32_e32 v8, vcc_lo, v11, v8, vcc_lo
	v_subrev_co_ci_u32_e64 v12, s0, 0, v12, s0
	v_cmp_le_u32_e32 vcc_lo, s24, v15
	v_cmp_eq_u32_e64 s0, s25, v8
	v_cndmask_b32_e64 v15, 0, -1, vcc_lo
	v_cmp_le_u32_e32 vcc_lo, s25, v12
	v_cndmask_b32_e64 v16, 0, -1, vcc_lo
	v_cmp_le_u32_e32 vcc_lo, s24, v7
	;; [unrolled: 2-line block ×3, first 2 shown]
	v_cndmask_b32_e64 v17, 0, -1, vcc_lo
	v_cmp_eq_u32_e32 vcc_lo, s25, v12
	v_cndmask_b32_e64 v7, v17, v7, s0
	v_cndmask_b32_e32 v12, v16, v15, vcc_lo
	v_add_co_u32 v15, vcc_lo, v3, 1
	v_add_co_ci_u32_e32 v16, vcc_lo, 0, v9, vcc_lo
	v_cmp_ne_u32_e32 vcc_lo, 0, v12
	v_cndmask_b32_e32 v8, v16, v14, vcc_lo
	v_cndmask_b32_e32 v12, v15, v13, vcc_lo
	v_cmp_ne_u32_e32 vcc_lo, 0, v7
	v_cndmask_b32_e32 v9, v9, v8, vcc_lo
	v_cndmask_b32_e32 v8, v3, v12, vcc_lo
.LBB0_4:                                ;   in Loop: Header=BB0_2 Depth=1
	s_andn2_saveexec_b32 s0, s1
	s_cbranch_execz .LBB0_6
; %bb.5:                                ;   in Loop: Header=BB0_2 Depth=1
	v_cvt_f32_u32_e32 v3, s24
	s_sub_i32 s1, 0, s24
	v_rcp_iflag_f32_e32 v3, v3
	v_mul_f32_e32 v3, 0x4f7ffffe, v3
	v_cvt_u32_f32_e32 v3, v3
	v_mul_lo_u32 v7, s1, v3
	v_mul_hi_u32 v7, v3, v7
	v_add_nc_u32_e32 v3, v3, v7
	v_mul_hi_u32 v3, v10, v3
	v_mul_lo_u32 v7, v3, s24
	v_add_nc_u32_e32 v8, 1, v3
	v_sub_nc_u32_e32 v7, v10, v7
	v_subrev_nc_u32_e32 v9, s24, v7
	v_cmp_le_u32_e32 vcc_lo, s24, v7
	v_cndmask_b32_e32 v7, v7, v9, vcc_lo
	v_cndmask_b32_e32 v3, v3, v8, vcc_lo
	v_mov_b32_e32 v9, v6
	v_cmp_le_u32_e32 vcc_lo, s24, v7
	v_add_nc_u32_e32 v8, 1, v3
	v_cndmask_b32_e32 v8, v3, v8, vcc_lo
.LBB0_6:                                ;   in Loop: Header=BB0_2 Depth=1
	s_or_b32 exec_lo, exec_lo, s0
	v_mul_lo_u32 v3, v9, s24
	v_mul_lo_u32 v7, v8, s25
	s_load_dwordx2 s[0:1], s[6:7], 0x0
	v_mad_u64_u32 v[12:13], null, v8, s24, 0
	s_load_dwordx2 s[24:25], s[2:3], 0x0
	s_add_u32 s22, s22, 1
	s_addc_u32 s23, s23, 0
	s_add_u32 s2, s2, 8
	s_addc_u32 s3, s3, 0
	s_add_u32 s6, s6, 8
	v_add3_u32 v3, v13, v7, v3
	v_sub_co_u32 v7, vcc_lo, v10, v12
	s_addc_u32 s7, s7, 0
	s_add_u32 s20, s20, 8
	v_sub_co_ci_u32_e32 v3, vcc_lo, v11, v3, vcc_lo
	s_addc_u32 s21, s21, 0
	s_waitcnt lgkmcnt(0)
	v_mul_lo_u32 v10, s0, v3
	v_mul_lo_u32 v11, s1, v7
	v_mad_u64_u32 v[1:2], null, s0, v7, v[1:2]
	v_mul_lo_u32 v3, s24, v3
	v_mul_lo_u32 v12, s25, v7
	v_mad_u64_u32 v[4:5], null, s24, v7, v[4:5]
	v_cmp_ge_u64_e64 s0, s[22:23], s[10:11]
	v_add3_u32 v2, v11, v2, v10
	v_add3_u32 v5, v12, v5, v3
	s_and_b32 vcc_lo, exec_lo, s0
	s_cbranch_vccnz .LBB0_9
; %bb.7:                                ;   in Loop: Header=BB0_2 Depth=1
	v_mov_b32_e32 v11, v9
	v_mov_b32_e32 v10, v8
	s_branch .LBB0_2
.LBB0_8:
	v_mov_b32_e32 v5, v2
	v_mov_b32_e32 v8, v10
	;; [unrolled: 1-line block ×4, first 2 shown]
.LBB0_9:
	s_load_dwordx2 s[0:1], s[4:5], 0x28
	v_mul_hi_u32 v3, 0x226b903, v0
	s_lshl_b64 s[4:5], s[10:11], 3
	v_mov_b32_e32 v27, 0
	s_add_u32 s2, s18, s4
	s_addc_u32 s3, s19, s5
                                        ; implicit-def: $vgpr40
                                        ; implicit-def: $vgpr19
                                        ; implicit-def: $vgpr39
                                        ; implicit-def: $vgpr20
                                        ; implicit-def: $vgpr38
                                        ; implicit-def: $vgpr14
                                        ; implicit-def: $vgpr37
                                        ; implicit-def: $vgpr15
                                        ; implicit-def: $vgpr36
                                        ; implicit-def: $vgpr13
                                        ; implicit-def: $vgpr35
                                        ; implicit-def: $vgpr12
                                        ; implicit-def: $vgpr34
                                        ; implicit-def: $vgpr11
                                        ; implicit-def: $vgpr33
                                        ; implicit-def: $vgpr7
                                        ; implicit-def: $vgpr16
                                        ; implicit-def: $vgpr30
                                        ; implicit-def: $vgpr17
                                        ; implicit-def: $vgpr28
                                        ; implicit-def: $vgpr22
                                        ; implicit-def: $vgpr26
                                        ; implicit-def: $vgpr24
                                        ; implicit-def: $vgpr10
                                        ; implicit-def: $vgpr25
                                        ; implicit-def: $vgpr29
                                        ; implicit-def: $vgpr23
                                        ; implicit-def: $vgpr31
                                        ; implicit-def: $vgpr21
                                        ; implicit-def: $vgpr32
                                        ; implicit-def: $vgpr18
	v_mul_u32_u24_e32 v3, 0x77, v3
	v_sub_nc_u32_e32 v6, v0, v3
	v_mov_b32_e32 v0, 0
	s_waitcnt lgkmcnt(0)
	v_cmp_gt_u64_e32 vcc_lo, s[0:1], v[8:9]
	v_cmp_gt_u32_e64 s0, 0x69, v6
	s_and_b32 s1, vcc_lo, s0
	s_and_saveexec_b32 s6, s1
	s_cbranch_execz .LBB0_11
; %bb.10:
	s_add_u32 s4, s16, s4
	s_addc_u32 s5, s17, s5
	v_mov_b32_e32 v7, 0
	s_load_dwordx2 s[4:5], s[4:5], 0x0
	s_waitcnt lgkmcnt(0)
	v_mul_lo_u32 v0, s5, v8
	v_mul_lo_u32 v3, s4, v9
	v_mad_u64_u32 v[10:11], null, s4, v8, 0
	v_add3_u32 v11, v11, v3, v0
	v_lshlrev_b64 v[0:1], 2, v[1:2]
	v_lshlrev_b64 v[2:3], 2, v[6:7]
	;; [unrolled: 1-line block ×3, first 2 shown]
	v_add_co_u32 v10, s1, s12, v10
	v_add_co_ci_u32_e64 v11, s1, s13, v11, s1
	v_add_co_u32 v0, s1, v10, v0
	v_add_co_ci_u32_e64 v7, s1, v11, v1, s1
	;; [unrolled: 2-line block ×6, first 2 shown]
	s_clause 0x10
	global_load_dword v0, v[1:2], off
	global_load_dword v19, v[1:2], off offset:420
	global_load_dword v20, v[1:2], off offset:840
	;; [unrolled: 1-line block ×16, first 2 shown]
	s_waitcnt vmcnt(15)
	v_lshrrev_b32_e32 v40, 16, v19
	s_waitcnt vmcnt(14)
	v_lshrrev_b32_e32 v39, 16, v20
	;; [unrolled: 2-line block ×15, first 2 shown]
	s_waitcnt vmcnt(0)
	v_perm_b32 v27, v0, v16, 0x7060302
.LBB0_11:
	s_or_b32 exec_lo, exec_lo, s6
	v_add_f16_e32 v49, v19, v25
	v_sub_f16_e32 v48, v40, v10
	v_add_f16_e32 v47, v20, v24
	v_sub_f16_e32 v50, v39, v26
	v_add_f16_e32 v51, v14, v22
	v_pk_mul_f16 v44, 0x3b7639e9, v49 op_sel_hi:[1,0]
	v_sub_f16_e32 v52, v38, v28
	v_pk_mul_f16 v45, 0x39e92de8, v47 op_sel_hi:[1,0]
	v_add_f16_e32 v53, v15, v23
	v_pk_mul_f16 v46, 0x3722b8d2, v51 op_sel_hi:[1,0]
	v_pk_fma_f16 v1, 0xb5c8b964, v48, v44 op_sel_hi:[1,0,1]
	v_sub_f16_e32 v54, v37, v29
	v_pk_fma_f16 v2, 0xb964bbf7, v50, v45 op_sel_hi:[1,0,1]
	v_add_f16_e32 v55, v13, v21
	v_pk_mul_f16 v41, 0x2de8bbdd, v53 op_sel_hi:[1,0]
	v_pk_add_f16 v1, v0, v1 op_sel_hi:[0,1]
	v_pk_fma_f16 v3, 0xbb29ba62, v52, v46 op_sel_hi:[1,0,1]
	v_sub_f16_e32 v57, v36, v31
	v_add_f16_e32 v56, v12, v17
	v_pk_mul_f16 v42, 0xb461bacd, v55 op_sel_hi:[1,0]
	v_pk_add_f16 v1, v2, v1
	v_pk_fma_f16 v2, 0xbbf7b1e1, v54, v41 op_sel_hi:[1,0,1]
	v_sub_f16_e32 v58, v35, v30
	v_add_f16_e32 v59, v11, v18
	v_pk_mul_f16 v43, 0xb8d2b461, v56 op_sel_hi:[1,0]
	v_pk_add_f16 v1, v3, v1
	v_pk_fma_f16 v3, 0xbbb23836, v57, v42 op_sel_hi:[1,0,1]
	v_sub_f16_e32 v60, v34, v32
	v_add_f16_e32 v62, v7, v16
	v_pk_fma_f16 v63, 0xba623bb2, v58, v43 op_sel_hi:[1,0,1]
	v_pk_add_f16 v1, v2, v1
	v_pk_mul_f16 v2, 0xbacd3722, v59 op_sel_hi:[1,0]
	v_sub_f16_e32 v61, v33, v27
	v_pk_add_f16 v1, v1, v3
	v_pk_fma_f16 v3, 0xb8363b29, v60, v2 op_sel_hi:[1,0,1]
	v_pk_add_f16 v63, v63, v1
	v_pk_mul_f16 v1, 0xbbdd3b76, v62 op_sel_hi:[1,0]
	v_pk_add_f16 v3, v63, v3
	v_pk_fma_f16 v63, 0xb1e135c8, v61, v1 op_sel_hi:[1,0,1]
	v_pk_add_f16 v3, v63, v3
	s_and_saveexec_b32 s1, s0
	s_cbranch_execz .LBB0_13
; %bb.12:
	v_pack_b32_f16 v64, v48, v48
	v_pk_mul_f16 v48, 0xb5c8b964, v48 op_sel_hi:[1,0]
	v_add_f16_e32 v63, v0, v19
	v_pack_b32_f16 v49, v49, v49
	v_perm_b32 v0, v0, v0, 0x5040100
	v_pack_b32_f16 v65, v50, v50
	v_pk_mul_f16 v50, 0xb964bbf7, v50 op_sel_hi:[1,0]
	v_pk_add_f16 v44, v44, v48 neg_lo:[0,1] neg_hi:[0,1]
	v_pack_b32_f16 v47, v47, v47
	v_pack_b32_f16 v66, v52, v52
	v_pk_mul_f16 v52, 0xbb29ba62, v52 op_sel_hi:[1,0]
	v_pk_mul_f16 v72, 0xbbddbacd, v49
	v_pk_mul_f16 v80, 0xb8d2b461, v49
	;; [unrolled: 1-line block ×3, first 2 shown]
	v_pk_add_f16 v45, v45, v50 neg_lo:[0,1] neg_hi:[0,1]
	v_pk_add_f16 v44, v0, v44
	v_pack_b32_f16 v51, v51, v51
	v_pack_b32_f16 v67, v54, v54
	v_pk_mul_f16 v54, 0xbbf7b1e1, v54 op_sel_hi:[1,0]
	v_pk_mul_f16 v73, 0x3b763722, v47
	v_pk_mul_f16 v81, 0xb461bacd, v47
	;; [unrolled: 1-line block ×3, first 2 shown]
	v_pk_add_f16 v46, v46, v52 neg_lo:[0,1] neg_hi:[0,1]
	v_pk_add_f16 v44, v45, v44
	v_pk_fma_f16 v52, 0xbbf7bb29, v64, v49 neg_lo:[0,1,0] neg_hi:[0,1,0]
	v_pack_b32_f16 v53, v53, v53
	v_pack_b32_f16 v68, v57, v57
	v_pk_mul_f16 v57, 0xbbb23836, v57 op_sel_hi:[1,0]
	v_pk_mul_f16 v74, 0xbacd2de8, v51
	v_pk_mul_f16 v82, 0x3b7639e9, v51
	;; [unrolled: 1-line block ×3, first 2 shown]
	v_pk_add_f16 v41, v41, v54 neg_lo:[0,1] neg_hi:[0,1]
	v_pk_add_f16 v44, v46, v44
	v_pk_add_f16 v52, v0, v52
	v_pk_fma_f16 v54, 0xb1e1ba62, v65, v47 neg_lo:[0,1,0] neg_hi:[0,1,0]
	v_pack_b32_f16 v55, v55, v55
	v_pack_b32_f16 v69, v58, v58
	v_pk_mul_f16 v58, 0xba623bb2, v58 op_sel_hi:[1,0]
	v_pk_mul_f16 v50, 0x3b76b461, v53
	v_pk_add_f16 v41, v41, v44
	v_pk_add_f16 v42, v42, v57 neg_lo:[0,1] neg_hi:[0,1]
	v_pk_add_f16 v52, v54, v52
	v_pk_fma_f16 v54, 0x3bb231e1, v66, v51 neg_lo:[0,1,0] neg_hi:[0,1,0]
	v_pack_b32_f16 v56, v56, v56
	v_pack_b32_f16 v70, v60, v60
	v_pk_mul_f16 v60, 0xb8363b29, v60 op_sel_hi:[1,0]
	v_pk_mul_f16 v75, 0x39e9b8d2, v53
	v_pk_mul_f16 v83, 0xbacd3722, v53
	;; [unrolled: 1-line block ×3, first 2 shown]
	v_pk_add_f16 v41, v41, v42
	v_pk_add_f16 v42, v43, v58 neg_lo:[0,1] neg_hi:[0,1]
	v_pk_fma_f16 v43, 0xba62bbb2, v64, v80 neg_lo:[0,1,0] neg_hi:[0,1,0]
	v_pk_add_f16 v52, v54, v52
	v_pk_fma_f16 v54, 0x35c83bb2, v67, v50 neg_lo:[0,1,0] neg_hi:[0,1,0]
	v_pk_mul_f16 v77, 0x3722bbdd, v56
	v_pk_mul_f16 v85, 0x39e92de8, v56
	;; [unrolled: 1-line block ×3, first 2 shown]
	v_pk_add_f16 v41, v42, v41
	v_pk_add_f16 v2, v2, v60 neg_lo:[0,1] neg_hi:[0,1]
	v_pk_add_f16 v42, v0, v43
	v_pk_fma_f16 v43, 0x3bb23836, v65, v81 neg_lo:[0,1,0] neg_hi:[0,1,0]
	v_pk_add_f16 v52, v54, v52
	v_pk_fma_f16 v54, 0xbb293964, v68, v53 neg_lo:[0,1,0] neg_hi:[0,1,0]
	v_pk_fma_f16 v56, 0xb1e1b836, v64, v72 neg_lo:[0,1,0] neg_hi:[0,1,0]
	v_add_f16_e32 v63, v63, v20
	v_pack_b32_f16 v59, v59, v59
	v_pk_add_f16 v2, v41, v2
	v_pk_add_f16 v41, v43, v42
	v_pk_fma_f16 v42, 0xb5c83964, v66, v82 neg_lo:[0,1,0] neg_hi:[0,1,0]
	v_pk_add_f16 v43, v52, v54
	v_pk_add_f16 v52, v0, v56
	v_pk_fma_f16 v54, 0x35c83b29, v65, v73 neg_lo:[0,1,0] neg_hi:[0,1,0]
	v_add_f16_e32 v63, v63, v14
	v_pack_b32_f16 v71, v61, v61
	v_pk_mul_f16 v61, 0xb1e135c8, v61 op_sel_hi:[1,0]
	v_pk_mul_f16 v84, 0x2de8bbdd, v55
	v_pk_mul_f16 v46, 0xb8d22de8, v59
	v_pk_fma_f16 v56, 0xb836b5c8, v69, v45 neg_lo:[0,1,0] neg_hi:[0,1,0]
	v_pk_add_f16 v41, v42, v41
	v_pk_fma_f16 v42, 0xb836bb29, v67, v83 neg_lo:[0,1,0] neg_hi:[0,1,0]
	v_pk_add_f16 v52, v54, v52
	v_pk_fma_f16 v54, 0xb836bbf7, v66, v74 neg_lo:[0,1,0] neg_hi:[0,1,0]
	v_add_f16_e32 v63, v63, v15
	v_pack_b32_f16 v62, v62, v62
	v_pk_mul_f16 v76, 0xb8d23b76, v55
	v_pk_add_f16 v1, v1, v61 neg_lo:[0,1] neg_hi:[0,1]
	v_pk_add_f16 v43, v56, v43
	v_pk_add_f16 v41, v42, v41
	v_pk_fma_f16 v42, 0x3bf7b1e1, v68, v84 neg_lo:[0,1,0] neg_hi:[0,1,0]
	v_pk_fma_f16 v56, 0x3a62bbf7, v70, v46 neg_lo:[0,1,0] neg_hi:[0,1,0]
	v_pk_add_f16 v52, v54, v52
	v_pk_fma_f16 v54, 0x39643a62, v67, v75 neg_lo:[0,1,0] neg_hi:[0,1,0]
	v_add_f16_e32 v63, v63, v13
	v_pk_mul_f16 v44, 0x39e9bacd, v62
	v_pk_add_f16 v1, v1, v2
	v_pk_add_f16 v2, v41, v42
	v_pk_fma_f16 v41, 0xb9643bf7, v69, v85 neg_lo:[0,1,0] neg_hi:[0,1,0]
	v_pk_add_f16 v42, v43, v56
	v_pk_add_f16 v43, v54, v52
	v_pk_fma_f16 v52, 0xba62b5c8, v68, v76 neg_lo:[0,1,0] neg_hi:[0,1,0]
	v_add_f16_e32 v63, v63, v12
	v_pk_fma_f16 v54, 0x3964b836, v71, v44 neg_lo:[0,1,0] neg_hi:[0,1,0]
	v_pk_add_f16 v2, v41, v2
	v_alignbit_b32 v41, v1, v1, 16
	v_pk_add_f16 v1, v43, v52
	v_pk_fma_f16 v43, 0x3b29b1e1, v69, v77 neg_lo:[0,1,0] neg_hi:[0,1,0]
	v_add_f16_e32 v63, v63, v11
	v_pk_add_f16 v42, v54, v42
	v_pk_fma_f16 v54, 0xb1e1b836, v64, v72
	v_pk_fma_f16 v49, 0xbbf7bb29, v64, v49
	v_pk_add_f16 v1, v43, v1
	v_pk_fma_f16 v43, 0xba62bbb2, v64, v80
	v_add_f16_e32 v63, v63, v7
	v_pk_add_f16 v54, v0, v54
	v_pk_fma_f16 v57, 0x35c83b29, v65, v73
	v_pk_fma_f16 v58, 0x3bb23836, v65, v81
	v_pk_add_f16 v43, v0, v43
	v_pk_add_f16 v0, v0, v49
	v_pk_fma_f16 v47, 0xb1e1ba62, v65, v47
	v_add_f16_e32 v63, v63, v16
	v_pk_add_f16 v49, v57, v54
	v_pk_fma_f16 v54, 0xb836bbf7, v66, v74
	v_pk_add_f16 v43, v58, v43
	v_pk_fma_f16 v57, 0xb5c83964, v66, v82
	v_pk_add_f16 v0, v47, v0
	v_pk_fma_f16 v47, 0x3bb231e1, v66, v51
	v_add_f16_e32 v63, v63, v18
	v_pk_add_f16 v49, v54, v49
	v_pk_fma_f16 v51, 0x39643a62, v67, v75
	v_pk_add_f16 v43, v57, v43
	v_pk_fma_f16 v54, 0xb836bb29, v67, v83
	;; [unrolled: 7-line block ×3, first 2 shown]
	v_pk_add_f16 v0, v47, v0
	v_pk_fma_f16 v47, 0xbb293964, v68, v53
	v_add_f16_e32 v48, v21, v63
	v_pk_mul_f16 v86, 0xbbdd3b76, v59
	v_pk_mul_f16 v78, 0xb46139e9, v59
	v_pk_add_f16 v49, v49, v50
	v_pk_fma_f16 v50, 0x3b29b1e1, v69, v77
	v_pk_add_f16 v43, v43, v51
	v_pk_fma_f16 v51, 0xb9643bf7, v69, v85
	;; [unrolled: 2-line block ×3, first 2 shown]
	v_add_f16_e32 v48, v23, v48
	v_pk_fma_f16 v56, 0xb1e1b5c8, v70, v86 neg_lo:[0,1,0] neg_hi:[0,1,0]
	v_pk_mul_f16 v79, 0x2de8b461, v62
	v_pk_mul_f16 v87, 0x3722b8d2, v62
	v_pk_add_f16 v47, v50, v49
	v_pk_fma_f16 v49, 0xbbb23964, v70, v78
	v_pk_add_f16 v43, v51, v43
	v_pk_fma_f16 v50, 0xb1e1b5c8, v70, v86
	;; [unrolled: 2-line block ×3, first 2 shown]
	v_add_f16_e32 v48, v22, v48
	v_pk_add_f16 v2, v2, v56
	v_pk_fma_f16 v56, 0xbbb23964, v70, v78 neg_lo:[0,1,0] neg_hi:[0,1,0]
	v_pk_add_f16 v46, v47, v49
	v_pk_fma_f16 v47, 0x3bf7bbb2, v71, v79
	v_pk_add_f16 v43, v43, v50
	v_pk_fma_f16 v49, 0x3b29ba62, v71, v87
	;; [unrolled: 2-line block ×3, first 2 shown]
	v_add_f16_e32 v48, v24, v48
	v_pk_fma_f16 v52, 0x3b29ba62, v71, v87 neg_lo:[0,1,0] neg_hi:[0,1,0]
	v_pk_add_f16 v1, v1, v56
	v_pk_fma_f16 v45, 0x3bf7bbb2, v71, v79 neg_lo:[0,1,0] neg_hi:[0,1,0]
	v_pk_add_f16 v46, v47, v46
	v_pk_add_f16 v47, v49, v43
	;; [unrolled: 1-line block ×3, first 2 shown]
	v_add_f16_e32 v48, v25, v48
	v_mad_u32_u24 v55, v6, 34, 0
	v_pk_add_f16 v43, v52, v2
	v_pk_add_f16 v44, v45, v1
	v_alignbit_b32 v0, v46, v46, 16
	v_alignbit_b32 v1, v47, v47, 16
	;; [unrolled: 1-line block ×3, first 2 shown]
	ds_write_b16 v55, v48
	ds_write_b128 v55, v[41:44] offset:2
	ds_write_b128 v55, v[0:3] offset:18
.LBB0_13:
	s_or_b32 exec_lo, exec_lo, s1
	v_sub_f16_e32 v46, v19, v25
	v_add_f16_e32 v48, v40, v10
	v_sub_f16_e32 v45, v20, v24
	v_add_f16_e32 v44, v39, v26
	v_sub_f16_e32 v51, v14, v22
	v_pk_mul_f16 v0, 0xb5c8b964, v46 op_sel_hi:[1,0]
	v_add_f16_e32 v43, v38, v28
	v_pk_mul_f16 v1, 0xb964bbf7, v45 op_sel_hi:[1,0]
	v_sub_f16_e32 v49, v15, v23
	v_sub_f16_e32 v53, v13, v21
	v_pk_fma_f16 v2, 0x3b7639e9, v48, v0 op_sel_hi:[1,0,1] neg_lo:[0,0,1] neg_hi:[0,0,1]
	v_pk_mul_f16 v41, 0xbb29ba62, v51 op_sel_hi:[1,0]
	v_pk_fma_f16 v13, 0x39e92de8, v44, v1 op_sel_hi:[1,0,1] neg_lo:[0,0,1] neg_hi:[0,0,1]
	v_add_f16_e32 v50, v37, v29
	v_sub_f16_e32 v55, v12, v17
	v_pk_add_f16 v2, v27, v2 op_sel:[1,0]
	v_pk_mul_f16 v42, 0xbbf7b1e1, v49 op_sel_hi:[1,0]
	v_pk_fma_f16 v12, 0x3722b8d2, v43, v41 op_sel_hi:[1,0,1] neg_lo:[0,0,1] neg_hi:[0,0,1]
	v_add_f16_e32 v52, v36, v31
	v_sub_f16_e32 v57, v11, v18
	v_pk_add_f16 v2, v13, v2
	v_pk_mul_f16 v47, 0xbbb23836, v53 op_sel_hi:[1,0]
	v_pk_fma_f16 v11, 0x2de8bbdd, v50, v42 op_sel_hi:[1,0,1] neg_lo:[0,0,1] neg_hi:[0,0,1]
	v_sub_f16_e32 v59, v7, v16
	v_lshl_add_u32 v7, v6, 1, 0
	v_pk_add_f16 v2, v12, v2
	v_pk_fma_f16 v12, 0xb461bacd, v52, v47 op_sel_hi:[1,0,1] neg_lo:[0,0,1] neg_hi:[0,0,1]
	s_waitcnt lgkmcnt(0)
	s_barrier
	buffer_gl0_inv
	v_pk_add_f16 v2, v11, v2
	v_add_f16_e32 v54, v35, v30
	v_pk_mul_f16 v58, 0xba623bb2, v55 op_sel_hi:[1,0]
	v_add_f16_e32 v56, v34, v32
	v_pk_mul_f16 v60, 0xb8363b29, v57 op_sel_hi:[1,0]
	v_pk_add_f16 v2, v2, v12
	ds_read_u16 v17, v7 offset:1428
	ds_read_u16 v16, v7 offset:1666
	ds_read_u16 v15, v7
	ds_read_u16 v14, v7 offset:238
	ds_read_u16 v12, v7 offset:476
	;; [unrolled: 1-line block ×12, first 2 shown]
	v_pk_fma_f16 v61, 0xb8d2b461, v54, v58 op_sel_hi:[1,0,1] neg_lo:[0,0,1] neg_hi:[0,0,1]
	v_add_f16_e32 v62, v33, v27
	v_pk_fma_f16 v63, 0xbacd3722, v56, v60 op_sel_hi:[1,0,1] neg_lo:[0,0,1] neg_hi:[0,0,1]
	s_waitcnt lgkmcnt(0)
	s_barrier
	v_pk_add_f16 v2, v61, v2
	v_pk_mul_f16 v61, 0xb1e135c8, v59 op_sel_hi:[1,0]
	buffer_gl0_inv
	v_pk_add_f16 v2, v2, v63
	v_pk_fma_f16 v63, 0xbbdd3b76, v62, v61 op_sel_hi:[1,0,1] neg_lo:[0,0,1] neg_hi:[0,0,1]
	v_pk_add_f16 v2, v63, v2
	s_and_saveexec_b32 s1, s0
	s_cbranch_execz .LBB0_15
; %bb.14:
	v_add_f16_sdwa v40, v27, v40 dst_sel:DWORD dst_unused:UNUSED_PAD src0_sel:WORD_1 src1_sel:DWORD
	v_pack_b32_f16 v63, v48, v48
	v_pk_mul_f16 v48, 0x3b7639e9, v48 op_sel_hi:[1,0]
	v_bfi_b32 v33, 0xffff, v33, v0
	v_pack_b32_f16 v46, v46, v46
	v_add_f16_e32 v39, v40, v39
	v_pack_b32_f16 v40, v44, v44
	v_pk_mul_f16 v44, 0x39e92de8, v44 op_sel_hi:[1,0]
	v_add_f16_e32 v0, v48, v0
	v_pack_b32_f16 v65, v43, v43
	v_add_f16_e32 v38, v39, v38
	v_pk_mul_f16 v39, 0x3722b8d2, v43 op_sel_hi:[1,0]
	v_pk_add_f16 v1, v44, v1
	v_pack_b32_f16 v43, v51, v51
	v_pack_b32_f16 v51, v50, v50
	v_add_f16_e32 v37, v38, v37
	v_pk_mul_f16 v50, 0x2de8bbdd, v50 op_sel_hi:[1,0]
	v_pack_b32_f16 v38, v49, v49
	v_pack_b32_f16 v49, v52, v52
	v_pk_mul_f16 v52, 0xb461bacd, v52 op_sel_hi:[1,0]
	v_add_f16_e32 v36, v37, v36
	v_pk_add_f16 v39, v39, v41
	v_bfi_b32 v32, 0xffff, v32, v1
	v_add_f16_sdwa v0, v27, v0 dst_sel:DWORD dst_unused:UNUSED_PAD src0_sel:WORD_1 src1_sel:DWORD
	v_perm_b32 v64, v27, v27, 0x7060302
	v_add_f16_e32 v35, v36, v35
	v_pack_b32_f16 v45, v45, v45
	v_pk_add_f16 v41, v50, v42
	v_pk_add_f16 v42, v52, v47
	v_pk_mul_f16 v47, 0xbbf7bb29, v46
	v_add_f16_e32 v34, v35, v34
	v_add_f16_e32 v0, v1, v0
	v_pack_b32_f16 v37, v54, v54
	v_pk_mul_f16 v54, 0xb8d2b461, v54 op_sel_hi:[1,0]
	v_bfi_b32 v1, 0xffff, v31, v41
	v_bfi_b32 v34, 0xffff, v34, v48
	v_pk_mul_f16 v48, 0xb1e1ba62, v45
	v_add_f16_e32 v0, v39, v0
	v_pk_mul_f16 v36, 0xbacd3722, v56 op_sel_hi:[1,0]
	v_pk_add_f16 v44, v54, v58
	v_pk_add_f16 v33, v34, v33
	v_pk_mul_f16 v50, 0x3bb231e1, v43
	v_bfi_b32 v29, 0xffff, v29, v42
	v_pk_fma_f16 v31, 0xbbddb8d2, v40, v48
	v_add_f16_e32 v0, v41, v0
	v_pk_add_f16 v33, v33, v27
	v_bfi_b32 v27, 0xffff, v30, v39
	v_pack_b32_f16 v53, v53, v53
	v_pack_b32_f16 v66, v56, v56
	;; [unrolled: 1-line block ×3, first 2 shown]
	v_pk_add_f16 v30, v33, v32
	v_pack_b32_f16 v57, v62, v62
	v_pk_mul_f16 v62, 0xbbdd3b76, v62 op_sel_hi:[1,0]
	v_pk_add_f16 v36, v36, v60
	v_pk_mul_f16 v32, 0x35c83bb2, v38
	v_pk_add_f16 v27, v27, v30
	v_pk_fma_f16 v30, 0x2de83722, v63, v47
	v_bfi_b32 v28, 0xffff, v28, v44
	v_add_f16_e32 v0, v0, v42
	v_pack_b32_f16 v55, v55, v55
	v_pk_add_f16 v1, v1, v27
	v_pk_add_f16 v27, v64, v30
	v_pk_fma_f16 v30, 0xb461bbdd, v65, v50
	v_pk_add_f16 v34, v62, v61
	v_pk_mul_f16 v33, 0xbb293964, v53
	v_pk_add_f16 v1, v29, v1
	v_pk_add_f16 v27, v31, v27
	v_bfi_b32 v26, 0xffff, v26, v36
	v_pk_fma_f16 v29, 0x3b76b461, v51, v32
	v_add_f16_e32 v0, v44, v0
	v_pk_add_f16 v1, v28, v1
	v_pk_add_f16 v27, v30, v27
	v_bfi_b32 v10, 0xffff, v10, v34
	v_pk_fma_f16 v28, 0x372239e9, v49, v33
	v_add_f16_e32 v0, v0, v36
	v_pk_add_f16 v1, v26, v1
	v_pk_add_f16 v26, v29, v27
	v_pk_mul_f16 v27, 0xb836b5c8, v55
	v_pk_fma_f16 v29, 0x2de83722, v63, v47 neg_lo:[0,0,1] neg_hi:[0,0,1]
	v_add_f16_e32 v30, v34, v0
	v_pk_add_f16 v10, v10, v1
	v_pk_add_f16 v1, v26, v28
	v_pk_fma_f16 v26, 0xbacd3b76, v37, v27
	v_pk_mul_f16 v0, 0xba62bbb2, v46
	v_pk_add_f16 v28, v64, v29
	v_pk_fma_f16 v29, 0xbbddb8d2, v40, v48 neg_lo:[0,0,1] neg_hi:[0,0,1]
	v_pk_mul_f16 v34, 0x3bb23836, v45
	v_pk_add_f16 v1, v26, v1
	v_pk_mul_f16 v26, 0x3a62bbf7, v56
	v_pk_fma_f16 v31, 0xb8d2b461, v63, v0
	v_pk_add_f16 v28, v29, v28
	v_pk_fma_f16 v29, 0xb461bbdd, v65, v50 neg_lo:[0,0,1] neg_hi:[0,0,1]
	v_pk_fma_f16 v39, 0xb461bacd, v40, v34
	v_pk_fma_f16 v36, 0xb8d22de8, v66, v26
	v_pk_add_f16 v31, v64, v31
	v_pk_mul_f16 v41, 0xb5c83964, v43
	v_pk_add_f16 v28, v29, v28
	v_pk_fma_f16 v29, 0x3b76b461, v51, v32 neg_lo:[0,0,1] neg_hi:[0,0,1]
	v_pk_add_f16 v1, v1, v36
	v_pk_add_f16 v31, v39, v31
	v_pk_fma_f16 v32, 0x3b7639e9, v65, v41
	v_pk_mul_f16 v36, 0xb836bb29, v38
	v_pack_b32_f16 v35, v59, v59
	v_pk_add_f16 v28, v29, v28
	v_pk_fma_f16 v29, 0x372239e9, v49, v33 neg_lo:[0,0,1] neg_hi:[0,0,1]
	v_pk_add_f16 v31, v32, v31
	v_pk_fma_f16 v32, 0xbacd3722, v51, v36
	v_pk_mul_f16 v39, 0x3bf7b1e1, v53
	v_pk_mul_f16 v33, 0x3964b836, v35
	v_pk_add_f16 v28, v28, v29
	v_pk_fma_f16 v27, 0xbacd3b76, v37, v27 neg_lo:[0,0,1] neg_hi:[0,0,1]
	v_pk_add_f16 v31, v32, v31
	v_pk_fma_f16 v32, 0x2de8bbdd, v49, v39
	v_pk_mul_f16 v42, 0xb9643bf7, v55
	v_pk_fma_f16 v0, 0xb8d2b461, v63, v0 neg_lo:[0,0,1] neg_hi:[0,0,1]
	v_pk_fma_f16 v29, 0x39e9bacd, v57, v33
	v_pk_add_f16 v27, v27, v28
	v_pk_fma_f16 v28, 0xb8d22de8, v66, v26 neg_lo:[0,0,1] neg_hi:[0,0,1]
	v_pk_add_f16 v31, v31, v32
	v_pk_fma_f16 v32, 0x39e92de8, v37, v42
	v_pk_add_f16 v0, v64, v0
	v_pk_fma_f16 v34, 0xb461bacd, v40, v34 neg_lo:[0,0,1] neg_hi:[0,0,1]
	v_pk_add_f16 v26, v29, v1
	v_pk_add_f16 v1, v27, v28
	;; [unrolled: 1-line block ×3, first 2 shown]
	v_pk_fma_f16 v29, 0x3b7639e9, v65, v41 neg_lo:[0,0,1] neg_hi:[0,0,1]
	v_pk_add_f16 v0, v34, v0
	v_pk_mul_f16 v32, 0xb1e1b836, v46
	v_pk_fma_f16 v31, 0x39e9bacd, v57, v33 neg_lo:[0,0,1] neg_hi:[0,0,1]
	v_pk_mul_f16 v34, 0x35c83b29, v45
	v_pk_mul_f16 v41, 0xb836bbf7, v43
	v_pk_add_f16 v0, v29, v0
	v_pk_fma_f16 v29, 0xbacd3722, v51, v36 neg_lo:[0,0,1] neg_hi:[0,0,1]
	v_pk_fma_f16 v33, 0xbbddbacd, v63, v32 neg_lo:[0,0,1] neg_hi:[0,0,1]
	v_pk_fma_f16 v32, 0xbbddbacd, v63, v32
	v_pk_fma_f16 v39, 0x2de8bbdd, v49, v39 neg_lo:[0,0,1] neg_hi:[0,0,1]
	v_pk_mul_f16 v38, 0x39643a62, v38
	v_pk_add_f16 v0, v29, v0
	v_pk_add_f16 v29, v64, v33
	v_pk_fma_f16 v33, 0x3b763722, v40, v34 neg_lo:[0,0,1] neg_hi:[0,0,1]
	v_pk_add_f16 v32, v64, v32
	v_pk_fma_f16 v34, 0x3b763722, v40, v34
	v_pk_add_f16 v0, v0, v39
	v_pk_mul_f16 v39, 0xba62b5c8, v53
	v_pk_add_f16 v29, v33, v29
	v_pk_fma_f16 v33, 0xbacd2de8, v65, v41 neg_lo:[0,0,1] neg_hi:[0,0,1]
	v_pk_add_f16 v32, v34, v32
	v_pk_fma_f16 v34, 0xbacd2de8, v65, v41
	v_pk_mul_f16 v44, 0xb1e1b5c8, v56
	v_pk_mul_f16 v40, 0x3b29b1e1, v55
	v_pk_add_f16 v29, v33, v29
	v_pk_fma_f16 v33, 0x39e9b8d2, v51, v38 neg_lo:[0,0,1] neg_hi:[0,0,1]
	v_pk_add_f16 v32, v34, v32
	v_pk_fma_f16 v34, 0x39e9b8d2, v51, v38
	v_pk_fma_f16 v38, 0x39e92de8, v37, v42 neg_lo:[0,0,1] neg_hi:[0,0,1]
	v_pk_fma_f16 v28, 0xbbdd3b76, v66, v44
	v_pk_add_f16 v29, v33, v29
	v_pk_fma_f16 v33, 0xb8d23b76, v49, v39 neg_lo:[0,0,1] neg_hi:[0,0,1]
	v_pk_add_f16 v32, v34, v32
	v_pk_fma_f16 v34, 0xb8d23b76, v49, v39
	v_pk_add_f16 v0, v38, v0
	v_pk_mul_f16 v38, 0xbbb23964, v56
	v_pk_add_f16 v29, v29, v33
	v_pk_fma_f16 v33, 0x3722bbdd, v37, v40 neg_lo:[0,0,1] neg_hi:[0,0,1]
	v_pk_add_f16 v27, v27, v28
	v_pk_mul_f16 v28, 0x3b29ba62, v35
	v_pk_add_f16 v32, v32, v34
	v_pk_fma_f16 v34, 0x3722bbdd, v37, v40
	v_pk_add_f16 v29, v33, v29
	v_pk_fma_f16 v33, 0xb46139e9, v66, v38 neg_lo:[0,0,1] neg_hi:[0,0,1]
	v_pk_mul_f16 v35, 0x3bf7bbb2, v35
	v_pk_fma_f16 v37, 0xbbdd3b76, v66, v44 neg_lo:[0,0,1] neg_hi:[0,0,1]
	v_pk_add_f16 v32, v34, v32
	v_pk_fma_f16 v34, 0xb46139e9, v66, v38
	v_pk_add_f16 v29, v29, v33
	v_pk_fma_f16 v33, 0x2de8b461, v57, v35 neg_lo:[0,0,1] neg_hi:[0,0,1]
	v_pk_fma_f16 v36, 0x3722b8d2, v57, v28
	v_pk_add_f16 v0, v0, v37
	v_pk_fma_f16 v28, 0x3722b8d2, v57, v28 neg_lo:[0,0,1] neg_hi:[0,0,1]
	v_pk_add_f16 v32, v32, v34
	v_pk_fma_f16 v34, 0x2de8b461, v57, v35
	v_pk_add_f16 v29, v33, v29
	v_pk_add_f16 v1, v31, v1
	;; [unrolled: 1-line block ×3, first 2 shown]
	v_lshl_add_u32 v31, v6, 5, v7
	v_pk_add_f16 v27, v36, v27
	v_pk_add_f16 v28, v34, v32
	v_alignbit_b32 v29, v29, v29, 16
	v_alignbit_b32 v0, v0, v0, 16
	;; [unrolled: 1-line block ×3, first 2 shown]
	ds_write_b32 v31, v10
	ds_write_b16 v31, v30 offset:4
	ds_write_b128 v31, v[26:29] offset:6
	ds_write_b96 v31, v[0:2] offset:22
.LBB0_15:
	s_or_b32 exec_lo, exec_lo, s1
	v_and_b32_e32 v1, 0xff, v6
	v_add_nc_u32_e32 v26, 0x1dc, v6
	v_mov_b32_e32 v27, 0xf0f1
	v_add_nc_u32_e32 v0, 0x77, v6
	v_add_nc_u32_e32 v10, 0xee, v6
	v_mul_lo_u16 v28, 0xf1, v1
	v_add_nc_u32_e32 v30, 0x165, v6
	v_mul_u32_u24_sdwa v29, v26, v27 dst_sel:DWORD dst_unused:UNUSED_PAD src0_sel:WORD_0 src1_sel:DWORD
	v_and_b32_e32 v37, 0xff, v0
	v_mov_b32_e32 v32, 3
	v_lshrrev_b16 v36, 12, v28
	s_load_dwordx2 s[2:3], s[2:3], 0x0
	v_lshrrev_b32_e32 v38, 20, v29
	v_mul_lo_u16 v29, 0xf1, v37
	s_waitcnt lgkmcnt(0)
	v_mul_lo_u16 v28, v36, 17
	s_barrier
	v_mul_lo_u16 v31, v38, 17
	v_lshrrev_b16 v40, 12, v29
	buffer_gl0_inv
	v_sub_nc_u16 v39, v6, v28
	v_mul_u32_u24_sdwa v28, v10, v27 dst_sel:DWORD dst_unused:UNUSED_PAD src0_sel:WORD_0 src1_sel:DWORD
	v_mul_u32_u24_sdwa v27, v30, v27 dst_sel:DWORD dst_unused:UNUSED_PAD src0_sel:WORD_0 src1_sel:DWORD
	v_sub_nc_u16 v41, v26, v31
	v_mov_b32_e32 v63, 1
	v_lshlrev_b32_sdwa v26, v32, v39 dst_sel:DWORD dst_unused:UNUSED_PAD src0_sel:DWORD src1_sel:BYTE_0
	v_lshrrev_b32_e32 v42, 20, v28
	v_lshrrev_b32_e32 v43, 20, v27
	v_mul_lo_u16 v28, v40, 17
	v_lshlrev_b32_sdwa v29, v32, v41 dst_sel:DWORD dst_unused:UNUSED_PAD src0_sel:DWORD src1_sel:WORD_0
	global_load_dwordx2 v[26:27], v26, s[8:9]
	v_mul_lo_u16 v31, v42, 17
	v_mul_lo_u16 v33, v43, 17
	v_sub_nc_u16 v44, v0, v28
	global_load_dwordx2 v[28:29], v29, s[8:9]
	v_mov_b32_e32 v64, 0x66
	v_sub_nc_u16 v45, v10, v31
	v_sub_nc_u16 v46, v30, v33
	v_lshlrev_b32_sdwa v31, v32, v44 dst_sel:DWORD dst_unused:UNUSED_PAD src0_sel:DWORD src1_sel:BYTE_0
	v_mul_u32_u24_e32 v42, 0x66, v42
	v_mul_u32_u24_sdwa v36, v36, v64 dst_sel:DWORD dst_unused:UNUSED_PAD src0_sel:WORD_0 src1_sel:DWORD
	v_lshlrev_b32_sdwa v33, v32, v45 dst_sel:DWORD dst_unused:UNUSED_PAD src0_sel:DWORD src1_sel:WORD_0
	v_lshlrev_b32_sdwa v34, v32, v46 dst_sel:DWORD dst_unused:UNUSED_PAD src0_sel:DWORD src1_sel:WORD_0
	global_load_dwordx2 v[30:31], v31, s[8:9]
	v_mul_u32_u24_e32 v43, 0x66, v43
	s_clause 0x1
	global_load_dwordx2 v[32:33], v33, s[8:9]
	global_load_dwordx2 v[34:35], v34, s[8:9]
	ds_read_u16 v47, v7 offset:1428
	ds_read_u16 v48, v7 offset:1666
	ds_read_u16 v49, v7
	ds_read_u16 v50, v7 offset:238
	ds_read_u16 v51, v7 offset:476
	;; [unrolled: 1-line block ×12, first 2 shown]
	v_mul_u32_u24_e32 v38, 0x66, v38
	v_mul_u32_u24_sdwa v40, v40, v64 dst_sel:DWORD dst_unused:UNUSED_PAD src0_sel:WORD_0 src1_sel:DWORD
	v_lshlrev_b32_sdwa v39, v63, v39 dst_sel:DWORD dst_unused:UNUSED_PAD src0_sel:DWORD src1_sel:BYTE_0
	v_lshlrev_b32_sdwa v45, v63, v45 dst_sel:DWORD dst_unused:UNUSED_PAD src0_sel:DWORD src1_sel:WORD_0
	v_lshlrev_b32_sdwa v46, v63, v46 dst_sel:DWORD dst_unused:UNUSED_PAD src0_sel:DWORD src1_sel:WORD_0
	;; [unrolled: 1-line block ×3, first 2 shown]
	v_lshlrev_b32_sdwa v44, v63, v44 dst_sel:DWORD dst_unused:UNUSED_PAD src0_sel:DWORD src1_sel:BYTE_0
	v_add3_u32 v36, 0, v36, v39
	v_add3_u32 v39, 0, v42, v45
	;; [unrolled: 1-line block ×5, first 2 shown]
	v_mul_lo_u16 v1, 0xa1, v1
	v_mov_b32_e32 v60, 0xa0a1
	v_mul_lo_u16 v37, 0xa1, v37
	v_mov_b32_e32 v65, 4
	s_waitcnt vmcnt(0) lgkmcnt(0)
	v_lshrrev_b16 v1, 13, v1
	v_mul_u32_u24_sdwa v60, v10, v60 dst_sel:DWORD dst_unused:UNUSED_PAD src0_sel:WORD_0 src1_sel:DWORD
	v_lshrrev_b16 v37, 13, v37
	s_barrier
	buffer_gl0_inv
	v_mul_lo_u16 v66, v1, 51
	v_lshrrev_b32_e32 v60, 21, v60
	v_cmp_gt_u32_e64 s0, 17, v6
	v_sub_nc_u16 v64, v6, v66
	v_mul_lo_u16 v66, v37, 51
	v_lshlrev_b32_sdwa v67, v65, v64 dst_sel:DWORD dst_unused:UNUSED_PAD src0_sel:DWORD src1_sel:BYTE_0
	v_sub_nc_u16 v66, v0, v66
	v_mul_f16_sdwa v41, v54, v26 dst_sel:DWORD dst_unused:UNUSED_PAD src0_sel:DWORD src1_sel:WORD_1
	v_mul_f16_sdwa v43, v24, v26 dst_sel:DWORD dst_unused:UNUSED_PAD src0_sel:DWORD src1_sel:WORD_1
	;; [unrolled: 1-line block ×8, first 2 shown]
	v_fma_f16 v24, v24, v26, -v41
	v_fmac_f16_e32 v43, v54, v26
	v_fma_f16 v25, v25, v27, -v44
	v_fmac_f16_e32 v45, v61, v27
	v_fma_f16 v23, v23, v28, -v46
	v_mul_f16_sdwa v26, v47, v30 dst_sel:DWORD dst_unused:UNUSED_PAD src0_sel:DWORD src1_sel:WORD_1
	v_mul_f16_sdwa v27, v17, v30 dst_sel:DWORD dst_unused:UNUSED_PAD src0_sel:DWORD src1_sel:WORD_1
	;; [unrolled: 1-line block ×10, first 2 shown]
	v_fmac_f16_e32 v68, v62, v28
	v_fma_f16 v22, v22, v29, -v69
	v_fmac_f16_e32 v70, v59, v29
	v_fma_f16 v17, v17, v30, -v26
	;; [unrolled: 2-line block ×3, first 2 shown]
	v_add_f16_e32 v26, v15, v24
	v_add_f16_e32 v30, v49, v43
	v_mul_f16_sdwa v74, v18, v34 dst_sel:DWORD dst_unused:UNUSED_PAD src0_sel:DWORD src1_sel:WORD_1
	v_mul_f16_sdwa v76, v19, v35 dst_sel:DWORD dst_unused:UNUSED_PAD src0_sel:DWORD src1_sel:WORD_1
	v_fmac_f16_e32 v61, v48, v32
	v_fmac_f16_e32 v72, v57, v33
	v_fma_f16 v18, v18, v34, -v73
	v_fma_f16 v19, v19, v35, -v75
	v_fmac_f16_e32 v44, v56, v31
	v_fma_f16 v16, v16, v32, -v54
	v_fma_f16 v20, v20, v33, -v71
	v_add_f16_e32 v28, v24, v25
	v_add_f16_e32 v31, v43, v45
	v_sub_f16_e32 v24, v24, v25
	v_add_f16_e32 v33, v23, v22
	v_add_f16_e32 v41, v68, v70
	;; [unrolled: 1-line block ×5, first 2 shown]
	v_fmac_f16_e32 v74, v53, v34
	v_fmac_f16_e32 v76, v58, v35
	v_add_f16_e32 v53, v61, v72
	v_add_f16_e32 v56, v18, v19
	v_sub_f16_e32 v29, v43, v45
	v_fmac_f16_e32 v15, -0.5, v28
	v_fmac_f16_e32 v49, -0.5, v31
	v_sub_f16_e32 v31, v27, v44
	v_add_f16_e32 v43, v50, v27
	v_add_f16_e32 v27, v27, v44
	;; [unrolled: 1-line block ×5, first 2 shown]
	v_sub_f16_e32 v34, v68, v70
	v_add_f16_e32 v35, v55, v68
	v_sub_f16_e32 v23, v23, v22
	v_fmac_f16_e32 v13, -0.5, v33
	v_fmac_f16_e32 v55, -0.5, v41
	;; [unrolled: 1-line block ×3, first 2 shown]
	v_add_f16_e32 v45, v12, v16
	v_add_f16_e32 v48, v51, v61
	v_sub_f16_e32 v16, v16, v20
	v_add_f16_e32 v54, v11, v18
	v_sub_f16_e32 v57, v74, v76
	v_fmac_f16_e32 v51, -0.5, v53
	v_fmac_f16_e32 v11, -0.5, v56
	v_sub_f16_e32 v17, v17, v21
	v_sub_f16_e32 v47, v61, v72
	v_add_f16_e32 v59, v74, v76
	v_fmamk_f16 v33, v29, 0x3aee, v15
	v_fmac_f16_e32 v50, -0.5, v27
	v_fmac_f16_e32 v12, -0.5, v46
	v_fmac_f16_e32 v15, 0xbaee, v29
	v_add_f16_e32 v21, v28, v21
	v_fmamk_f16 v30, v34, 0x3aee, v13
	v_fmac_f16_e32 v13, 0xbaee, v34
	v_fmamk_f16 v34, v23, 0xbaee, v55
	v_fmac_f16_e32 v55, 0x3aee, v23
	;; [unrolled: 2-line block ×4, first 2 shown]
	v_fmamk_f16 v16, v57, 0x3aee, v11
	v_add_f16_e32 v58, v52, v74
	v_sub_f16_e32 v18, v18, v19
	v_add_f16_e32 v22, v32, v22
	v_add_f16_e32 v20, v45, v20
	;; [unrolled: 1-line block ×3, first 2 shown]
	v_fmac_f16_e32 v52, -0.5, v59
	ds_write_b16 v36, v25
	v_fmamk_f16 v25, v17, 0xbaee, v50
	v_fmac_f16_e32 v50, 0x3aee, v17
	v_fmamk_f16 v17, v47, 0x3aee, v12
	v_fmac_f16_e32 v12, 0xbaee, v47
	v_fmac_f16_e32 v11, 0xbaee, v57
	ds_write_b16 v36, v33 offset:34
	ds_write_b16 v36, v15 offset:68
	ds_write_b16 v40, v21
	ds_write_b16 v40, v23 offset:34
	ds_write_b16 v40, v14 offset:68
	ds_write_b16 v39, v20
	ds_write_b16 v39, v17 offset:34
	ds_write_b16 v39, v12 offset:68
	ds_write_b16 v42, v19
	ds_write_b16 v42, v16 offset:34
	ds_write_b16 v42, v11 offset:68
	ds_write_b16 v38, v22
	ds_write_b16 v38, v30 offset:34
	ds_write_b16 v38, v13 offset:68
	v_mul_lo_u16 v16, v60, 51
	v_add_f16_e32 v32, v35, v70
	v_fmamk_f16 v35, v18, 0xbaee, v52
	v_fmac_f16_e32 v52, 0x3aee, v18
	v_lshlrev_b32_sdwa v18, v65, v66 dst_sel:DWORD dst_unused:UNUSED_PAD src0_sel:DWORD src1_sel:BYTE_0
	v_sub_nc_u16 v16, v10, v16
	v_fmamk_f16 v29, v24, 0xbaee, v49
	v_fmac_f16_e32 v49, 0x3aee, v24
	v_add_f16_e32 v24, v43, v44
	v_add_f16_e32 v27, v48, v72
	;; [unrolled: 1-line block ×3, first 2 shown]
	s_waitcnt lgkmcnt(0)
	s_barrier
	buffer_gl0_inv
	ds_read_u16 v15, v7
	ds_read_u16 v17, v7 offset:238
	ds_read_u16 v30, v7 offset:952
	;; [unrolled: 1-line block ×14, first 2 shown]
	s_waitcnt lgkmcnt(0)
	s_barrier
	buffer_gl0_inv
	ds_write_b16 v36, v26
	ds_write_b16 v36, v29 offset:34
	ds_write_b16 v36, v49 offset:68
	ds_write_b16 v40, v24
	ds_write_b16 v40, v25 offset:34
	ds_write_b16 v40, v50 offset:68
	;; [unrolled: 3-line block ×5, first 2 shown]
	s_waitcnt lgkmcnt(0)
	s_barrier
	buffer_gl0_inv
	s_clause 0x1
	global_load_dwordx4 v[11:14], v67, s[8:9] offset:136
	global_load_dwordx4 v[22:25], v18, s[8:9] offset:136
	v_lshlrev_b32_sdwa v18, v65, v16 dst_sel:DWORD dst_unused:UNUSED_PAD src0_sel:DWORD src1_sel:WORD_0
	v_lshlrev_b32_sdwa v19, v63, v64 dst_sel:DWORD dst_unused:UNUSED_PAD src0_sel:DWORD src1_sel:BYTE_0
	v_mul_u32_u24_e32 v20, 0x1fe, v60
	v_lshlrev_b32_sdwa v16, v63, v16 dst_sel:DWORD dst_unused:UNUSED_PAD src0_sel:DWORD src1_sel:WORD_0
	v_lshlrev_b32_sdwa v21, v63, v66 dst_sel:DWORD dst_unused:UNUSED_PAD src0_sel:DWORD src1_sel:BYTE_0
	global_load_dwordx4 v[26:29], v18, s[8:9] offset:136
	v_mov_b32_e32 v18, 0x1fe
	ds_read_u16 v31, v7 offset:714
	ds_read_u16 v32, v7 offset:1428
	v_mul_u32_u24_sdwa v1, v1, v18 dst_sel:DWORD dst_unused:UNUSED_PAD src0_sel:WORD_0 src1_sel:DWORD
	v_mul_u32_u24_sdwa v18, v37, v18 dst_sel:DWORD dst_unused:UNUSED_PAD src0_sel:WORD_0 src1_sel:DWORD
	v_add3_u32 v19, 0, v1, v19
	v_add3_u32 v1, 0, v20, v16
	;; [unrolled: 1-line block ×3, first 2 shown]
	ds_read_u16 v34, v7 offset:2142
	ds_read_u16 v50, v7 offset:2856
	ds_read_u16 v35, v7
	ds_read_u16 v20, v7 offset:238
	ds_read_u16 v60, v7 offset:952
	;; [unrolled: 1-line block ×10, first 2 shown]
	s_waitcnt vmcnt(0) lgkmcnt(0)
	s_barrier
	buffer_gl0_inv
	v_mul_f16_sdwa v56, v32, v12 dst_sel:DWORD dst_unused:UNUSED_PAD src0_sel:DWORD src1_sel:WORD_1
	v_mul_f16_sdwa v58, v34, v13 dst_sel:DWORD dst_unused:UNUSED_PAD src0_sel:DWORD src1_sel:WORD_1
	;; [unrolled: 1-line block ×16, first 2 shown]
	v_fma_f16 v56, v44, v12, -v56
	v_fma_f16 v57, v57, v13, -v58
	v_mul_f16_sdwa v41, v43, v24 dst_sel:DWORD dst_unused:UNUSED_PAD src0_sel:DWORD src1_sel:WORD_1
	v_fma_f16 v55, v46, v11, -v52
	v_fma_f16 v58, v47, v14, -v71
	v_mul_f16_sdwa v16, v30, v22 dst_sel:DWORD dst_unused:UNUSED_PAD src0_sel:DWORD src1_sel:WORD_1
	v_mul_f16_sdwa v40, v33, v23 dst_sel:DWORD dst_unused:UNUSED_PAD src0_sel:DWORD src1_sel:WORD_1
	;; [unrolled: 1-line block ×5, first 2 shown]
	v_fmac_f16_e32 v49, v50, v14
	v_fma_f16 v52, v30, v22, -v72
	v_fma_f16 v47, v33, v23, -v73
	;; [unrolled: 1-line block ×4, first 2 shown]
	v_mul_f16_sdwa v38, v68, v27 dst_sel:DWORD dst_unused:UNUSED_PAD src0_sel:DWORD src1_sel:WORD_1
	v_mul_f16_sdwa v36, v61, v29 dst_sel:DWORD dst_unused:UNUSED_PAD src0_sel:DWORD src1_sel:WORD_1
	v_fma_f16 v45, v45, v26, -v76
	v_fma_f16 v43, v68, v27, -v77
	v_fma_f16 v44, v62, v28, -v78
	v_fma_f16 v46, v61, v29, -v79
	v_fmac_f16_e32 v51, v31, v11
	v_fmac_f16_e32 v53, v32, v12
	v_add_f16_e32 v12, v56, v57
	v_fmac_f16_e32 v48, v34, v13
	v_fmac_f16_e32 v41, v64, v24
	v_add_f16_e32 v24, v55, v58
	v_fmac_f16_e32 v16, v60, v22
	v_fmac_f16_e32 v40, v63, v23
	;; [unrolled: 1-line block ×5, first 2 shown]
	v_sub_f16_e32 v22, v55, v56
	v_sub_f16_e32 v23, v58, v57
	;; [unrolled: 1-line block ×4, first 2 shown]
	v_add_f16_e32 v28, v47, v50
	v_add_f16_e32 v33, v52, v54
	v_fmac_f16_e32 v38, v70, v27
	v_fmac_f16_e32 v36, v67, v29
	v_add_f16_e32 v11, v15, v55
	v_add_f16_e32 v62, v43, v44
	;; [unrolled: 1-line block ×3, first 2 shown]
	v_sub_f16_e32 v13, v51, v49
	v_add_f16_e32 v27, v17, v52
	v_sub_f16_e32 v34, v47, v52
	v_sub_f16_e32 v60, v50, v54
	v_fma_f16 v12, -0.5, v12, v15
	v_sub_f16_e32 v14, v53, v48
	v_fmac_f16_e32 v15, -0.5, v24
	v_sub_f16_e32 v29, v16, v42
	v_sub_f16_e32 v30, v40, v41
	v_add_f16_e32 v61, v59, v45
	v_add_f16_e32 v22, v22, v23
	;; [unrolled: 1-line block ×3, first 2 shown]
	v_fma_f16 v25, -0.5, v28, v17
	v_fmac_f16_e32 v17, -0.5, v33
	v_sub_f16_e32 v31, v52, v47
	v_sub_f16_e32 v32, v54, v50
	;; [unrolled: 1-line block ×6, first 2 shown]
	v_add_f16_e32 v70, v11, v56
	v_fma_f16 v11, -0.5, v62, v59
	v_fmac_f16_e32 v59, -0.5, v67
	v_add_f16_e32 v24, v27, v47
	v_add_f16_e32 v27, v34, v60
	v_fmamk_f16 v34, v13, 0x3b9c, v12
	v_fmamk_f16 v60, v14, 0xbb9c, v15
	v_fmac_f16_e32 v15, 0x3b9c, v14
	v_add_f16_e32 v28, v61, v43
	v_fmac_f16_e32 v12, 0xbb9c, v13
	v_fmamk_f16 v61, v29, 0x3b9c, v25
	v_fmac_f16_e32 v25, 0xbb9c, v29
	v_fmamk_f16 v62, v30, 0xbb9c, v17
	v_fmac_f16_e32 v17, 0x3b9c, v30
	v_sub_f16_e32 v68, v43, v45
	v_sub_f16_e32 v69, v44, v46
	v_add_f16_e32 v26, v31, v32
	v_add_f16_e32 v31, v65, v66
	;; [unrolled: 1-line block ×3, first 2 shown]
	v_fmamk_f16 v65, v63, 0x3b9c, v11
	v_fmac_f16_e32 v11, 0xbb9c, v63
	v_fmamk_f16 v66, v64, 0xbb9c, v59
	v_fmac_f16_e32 v59, 0x3b9c, v64
	v_fmac_f16_e32 v34, 0x38b4, v14
	;; [unrolled: 1-line block ×7, first 2 shown]
	v_add_f16_e32 v32, v68, v69
	v_add_f16_e32 v24, v24, v50
	;; [unrolled: 1-line block ×4, first 2 shown]
	v_fmac_f16_e32 v61, 0x38b4, v30
	v_fmac_f16_e32 v62, 0x38b4, v29
	;; [unrolled: 1-line block ×12, first 2 shown]
	v_add_f16_e32 v13, v24, v54
	v_add_f16_e32 v14, v28, v46
	v_fmac_f16_e32 v61, 0x34f2, v26
	v_fmac_f16_e32 v62, 0x34f2, v27
	;; [unrolled: 1-line block ×6, first 2 shown]
	ds_write_b16 v19, v33
	ds_write_b16 v19, v34 offset:102
	ds_write_b16 v19, v60 offset:204
	ds_write_b16 v19, v15 offset:306
	ds_write_b16 v19, v12 offset:408
	ds_write_b16 v18, v13
	ds_write_b16 v18, v61 offset:102
	ds_write_b16 v18, v62 offset:204
	ds_write_b16 v18, v17 offset:306
	ds_write_b16 v18, v25 offset:408
	;; [unrolled: 5-line block ×3, first 2 shown]
	s_waitcnt lgkmcnt(0)
	s_barrier
	buffer_gl0_inv
	ds_read_u16 v17, v7
	ds_read_u16 v23, v7 offset:2040
	ds_read_u16 v29, v7 offset:1768
	;; [unrolled: 1-line block ×13, first 2 shown]
                                        ; implicit-def: $vgpr13
                                        ; implicit-def: $vgpr14
                                        ; implicit-def: $vgpr12
                                        ; implicit-def: $vgpr15
	s_and_saveexec_b32 s1, s0
	s_cbranch_execz .LBB0_17
; %bb.16:
	ds_read_u16 v3, v7 offset:986
	ds_read_u16 v11, v7 offset:476
	;; [unrolled: 1-line block ×4, first 2 shown]
	s_waitcnt lgkmcnt(3)
	ds_read_u16_d16_hi v3, v7 offset:1496
	ds_read_u16 v13, v7 offset:2516
	ds_read_u16 v14, v7 offset:3536
.LBB0_17:
	s_or_b32 exec_lo, exec_lo, s1
	v_add_f16_e32 v59, v53, v48
	v_add_f16_e32 v60, v35, v51
	v_sub_f16_e32 v55, v55, v58
	v_sub_f16_e32 v56, v56, v57
	;; [unrolled: 1-line block ×3, first 2 shown]
	v_fma_f16 v58, -0.5, v59, v35
	v_sub_f16_e32 v59, v49, v48
	v_add_f16_e32 v60, v60, v53
	v_add_f16_e32 v61, v51, v49
	v_sub_f16_e32 v51, v53, v51
	v_fmamk_f16 v53, v55, 0xbb9c, v58
	v_add_f16_e32 v57, v57, v59
	v_add_f16_e32 v59, v60, v48
	v_fmac_f16_e32 v35, -0.5, v61
	v_fmac_f16_e32 v58, 0x3b9c, v55
	v_sub_f16_e32 v48, v48, v49
	v_fmac_f16_e32 v53, 0xb8b4, v56
	v_add_f16_e32 v49, v59, v49
	v_add_f16_e32 v59, v40, v41
	v_fmamk_f16 v60, v56, 0x3b9c, v35
	v_fmac_f16_e32 v58, 0x38b4, v56
	v_add_f16_e32 v48, v51, v48
	v_fmac_f16_e32 v35, 0xbb9c, v56
	v_add_f16_e32 v51, v20, v16
	v_fma_f16 v56, -0.5, v59, v20
	v_sub_f16_e32 v52, v52, v54
	v_fmac_f16_e32 v53, 0x34f2, v57
	v_fmac_f16_e32 v60, 0xb8b4, v55
	;; [unrolled: 1-line block ×4, first 2 shown]
	v_add_f16_e32 v51, v51, v40
	v_fmamk_f16 v54, v52, 0xbb9c, v56
	v_sub_f16_e32 v47, v47, v50
	v_sub_f16_e32 v50, v16, v40
	;; [unrolled: 1-line block ×3, first 2 shown]
	v_fmac_f16_e32 v56, 0x3b9c, v52
	v_add_f16_e32 v57, v16, v42
	v_add_f16_e32 v51, v51, v41
	v_fmac_f16_e32 v54, 0xb8b4, v47
	v_add_f16_e32 v50, v50, v55
	v_fmac_f16_e32 v56, 0x38b4, v47
	v_fmac_f16_e32 v20, -0.5, v57
	v_fmac_f16_e32 v60, 0x34f2, v48
	v_fmac_f16_e32 v35, 0x34f2, v48
	v_add_f16_e32 v48, v51, v42
	v_fmac_f16_e32 v54, 0x34f2, v50
	v_fmac_f16_e32 v56, 0x34f2, v50
	v_fmamk_f16 v50, v47, 0x3b9c, v20
	v_add_f16_e32 v51, v38, v39
	v_sub_f16_e32 v40, v40, v16
	v_sub_f16_e32 v41, v41, v42
	v_fmac_f16_e32 v20, 0xbb9c, v47
	v_add_f16_e32 v42, v21, v37
	v_sub_f16_e32 v45, v45, v46
	v_add_f16_e32 v46, v37, v36
	v_fma_f16 v16, -0.5, v51, v21
	v_fmac_f16_e32 v50, 0xb8b4, v52
	v_add_f16_e32 v40, v40, v41
	v_fmac_f16_e32 v20, 0x38b4, v52
	v_add_f16_e32 v41, v42, v38
	v_sub_f16_e32 v43, v43, v44
	v_fmac_f16_e32 v21, -0.5, v46
	v_fmamk_f16 v42, v45, 0xbb9c, v16
	v_fmac_f16_e32 v50, 0x34f2, v40
	v_fmac_f16_e32 v20, 0x34f2, v40
	v_add_f16_e32 v40, v41, v39
	v_sub_f16_e32 v41, v37, v38
	v_sub_f16_e32 v44, v36, v39
	v_fmamk_f16 v46, v43, 0x3b9c, v21
	v_sub_f16_e32 v37, v38, v37
	v_sub_f16_e32 v38, v39, v36
	v_fmac_f16_e32 v16, 0x3b9c, v45
	v_fmac_f16_e32 v21, 0xbb9c, v43
	;; [unrolled: 1-line block ×3, first 2 shown]
	v_add_f16_e32 v39, v41, v44
	v_fmac_f16_e32 v46, 0xb8b4, v45
	v_add_f16_e32 v37, v37, v38
	v_fmac_f16_e32 v16, 0x38b4, v43
	v_fmac_f16_e32 v21, 0x38b4, v45
	v_add_f16_e32 v36, v40, v36
	v_fmac_f16_e32 v42, 0x34f2, v39
	v_fmac_f16_e32 v46, 0x34f2, v37
	;; [unrolled: 1-line block ×4, first 2 shown]
	s_waitcnt lgkmcnt(0)
	s_barrier
	buffer_gl0_inv
	ds_write_b16 v19, v49
	ds_write_b16 v19, v53 offset:102
	ds_write_b16 v19, v60 offset:204
	ds_write_b16 v19, v35 offset:306
	ds_write_b16 v19, v58 offset:408
	ds_write_b16 v18, v48
	ds_write_b16 v18, v54 offset:102
	ds_write_b16 v18, v50 offset:204
	ds_write_b16 v18, v20 offset:306
	ds_write_b16 v18, v56 offset:408
	;; [unrolled: 5-line block ×3, first 2 shown]
	s_waitcnt lgkmcnt(0)
	s_barrier
	buffer_gl0_inv
	ds_read_u16 v35, v7
	ds_read_u16 v37, v7 offset:2040
	ds_read_u16 v44, v7 offset:1768
	ds_read_u16 v39, v7 offset:1530
	ds_read_u16 v42, v7 offset:1258
	ds_read_u16 v38, v7 offset:1020
	ds_read_u16 v45, v7 offset:748
	ds_read_u16 v40, v7 offset:510
	ds_read_u16 v36, v7 offset:238
	ds_read_u16 v47, v7 offset:3298
	ds_read_u16 v43, v7 offset:3060
	ds_read_u16 v46, v7 offset:2788
	ds_read_u16 v41, v7 offset:2550
	ds_read_u16 v48, v7 offset:2278
                                        ; implicit-def: $vgpr19
                                        ; implicit-def: $vgpr20
                                        ; implicit-def: $vgpr18
                                        ; implicit-def: $vgpr21
	s_and_saveexec_b32 s1, s0
	s_cbranch_execz .LBB0_19
; %bb.18:
	ds_read_u16 v2, v7 offset:986
	ds_read_u16 v16, v7 offset:476
	;; [unrolled: 1-line block ×4, first 2 shown]
	s_waitcnt lgkmcnt(3)
	ds_read_u16_d16_hi v2, v7 offset:1496
	ds_read_u16 v19, v7 offset:2516
	ds_read_u16 v20, v7 offset:3536
.LBB0_19:
	s_or_b32 exec_lo, exec_lo, s1
	s_and_saveexec_b32 s1, vcc_lo
	s_cbranch_execz .LBB0_22
; %bb.20:
	v_mul_u32_u24_e32 v1, 6, v0
	v_mul_lo_u32 v7, s2, v9
	v_mul_hi_u32 v61, 0x80808081, v0
	v_lshlrev_b32_e32 v1, 2, v1
	s_clause 0x1
	global_load_dwordx4 v[49:52], v1, s[8:9] offset:952
	global_load_dwordx2 v[57:58], v1, s[8:9] offset:968
	v_mul_u32_u24_e32 v1, 6, v6
	v_lshrrev_b32_e32 v61, 7, v61
	v_lshlrev_b32_e32 v1, 2, v1
	v_mul_u32_u24_e32 v61, 0x5fa, v61
	s_clause 0x1
	global_load_dwordx4 v[53:56], v1, s[8:9] offset:952
	global_load_dwordx2 v[59:60], v1, s[8:9] offset:968
	v_mul_lo_u32 v1, s3, v8
	v_mad_u64_u32 v[8:9], null, s2, v8, 0
	v_add3_u32 v9, v9, v7, v1
	v_mov_b32_e32 v7, 0
	v_lshlrev_b64 v[0:1], 2, v[4:5]
	v_lshlrev_b64 v[8:9], 2, v[8:9]
	;; [unrolled: 1-line block ×3, first 2 shown]
	v_mov_b32_e32 v62, v7
	v_add_co_u32 v8, vcc_lo, s14, v8
	v_add_co_ci_u32_e32 v9, vcc_lo, s15, v9, vcc_lo
	v_add_co_u32 v0, vcc_lo, v8, v0
	v_add_co_ci_u32_e32 v1, vcc_lo, v9, v1, vcc_lo
	v_lshlrev_b64 v[8:9], 2, v[61:62]
	v_add_co_u32 v0, vcc_lo, v0, v4
	v_add_co_ci_u32_e32 v1, vcc_lo, v1, v5, vcc_lo
	v_add_co_u32 v4, vcc_lo, 0x800, v0
	v_add_co_ci_u32_e32 v5, vcc_lo, 0, v1, vcc_lo
	;; [unrolled: 2-line block ×8, first 2 shown]
	s_waitcnt vmcnt(3) lgkmcnt(7)
	v_mul_f16_sdwa v71, v45, v49 dst_sel:DWORD dst_unused:UNUSED_PAD src0_sel:DWORD src1_sel:WORD_1
	s_waitcnt vmcnt(2) lgkmcnt(4)
	v_mul_f16_sdwa v72, v47, v58 dst_sel:DWORD dst_unused:UNUSED_PAD src0_sel:DWORD src1_sel:WORD_1
	s_waitcnt lgkmcnt(0)
	v_mul_f16_sdwa v73, v48, v52 dst_sel:DWORD dst_unused:UNUSED_PAD src0_sel:DWORD src1_sel:WORD_1
	v_mul_f16_sdwa v74, v44, v51 dst_sel:DWORD dst_unused:UNUSED_PAD src0_sel:DWORD src1_sel:WORD_1
	;; [unrolled: 1-line block ×10, first 2 shown]
	s_waitcnt vmcnt(1)
	v_mul_f16_sdwa v83, v40, v53 dst_sel:DWORD dst_unused:UNUSED_PAD src0_sel:DWORD src1_sel:WORD_1
	s_waitcnt vmcnt(0)
	v_mul_f16_sdwa v84, v43, v60 dst_sel:DWORD dst_unused:UNUSED_PAD src0_sel:DWORD src1_sel:WORD_1
	v_mul_f16_sdwa v85, v37, v56 dst_sel:DWORD dst_unused:UNUSED_PAD src0_sel:DWORD src1_sel:WORD_1
	;; [unrolled: 1-line block ×11, first 2 shown]
	v_fma_f16 v31, v31, v49, -v71
	v_fma_f16 v33, v33, v58, -v72
	;; [unrolled: 1-line block ×6, first 2 shown]
	v_fmac_f16_e32 v77, v47, v58
	v_fmac_f16_e32 v78, v45, v49
	;; [unrolled: 1-line block ×6, first 2 shown]
	v_fma_f16 v26, v26, v53, -v83
	v_fma_f16 v28, v28, v60, -v84
	;; [unrolled: 1-line block ×6, first 2 shown]
	v_fmac_f16_e32 v89, v43, v60
	v_fmac_f16_e32 v90, v40, v53
	v_fmac_f16_e32 v93, v41, v59
	v_fmac_f16_e32 v94, v38, v54
	v_fmac_f16_e32 v91, v39, v55
	v_fmac_f16_e32 v92, v37, v56
	v_sub_f16_e32 v37, v31, v33
	v_sub_f16_e32 v38, v34, v29
	;; [unrolled: 1-line block ×3, first 2 shown]
	v_add_f16_e32 v40, v78, v77
	v_add_f16_e32 v41, v80, v79
	;; [unrolled: 1-line block ×6, first 2 shown]
	v_sub_f16_e32 v32, v78, v77
	v_sub_f16_e32 v33, v80, v79
	;; [unrolled: 1-line block ×5, first 2 shown]
	v_add_f16_e32 v46, v90, v89
	v_add_f16_e32 v48, v94, v93
	;; [unrolled: 1-line block ×5, first 2 shown]
	v_sub_f16_e32 v45, v25, v27
	v_add_f16_e32 v47, v92, v91
	v_sub_f16_e32 v25, v90, v89
	v_sub_f16_e32 v27, v92, v91
	;; [unrolled: 1-line block ×5, first 2 shown]
	v_add_f16_e32 v38, v38, v39
	v_sub_f16_e32 v52, v41, v42
	v_add_f16_e32 v53, v40, v42
	v_sub_f16_e32 v54, v31, v29
	v_sub_f16_e32 v55, v29, v30
	v_add_f16_e32 v56, v31, v30
	v_sub_f16_e32 v57, v32, v33
	;; [unrolled: 3-line block ×3, first 2 shown]
	v_sub_f16_e32 v30, v30, v31
	v_sub_f16_e32 v31, v34, v32
	v_add_f16_e32 v71, v46, v48
	v_add_f16_e32 v74, v26, v24
	v_sub_f16_e32 v51, v40, v41
	v_sub_f16_e32 v40, v42, v40
	;; [unrolled: 1-line block ×4, first 2 shown]
	v_add_f16_e32 v44, v44, v45
	v_sub_f16_e32 v59, v46, v47
	v_sub_f16_e32 v60, v47, v48
	;; [unrolled: 1-line block ×6, first 2 shown]
	v_add_f16_e32 v27, v27, v28
	v_sub_f16_e32 v45, v45, v43
	v_sub_f16_e32 v46, v48, v46
	;; [unrolled: 1-line block ×4, first 2 shown]
	v_mul_f16_e32 v28, 0xb846, v50
	v_mul_f16_e32 v48, 0x2b26, v52
	v_add_f16_e32 v41, v41, v53
	v_mul_f16_e32 v50, 0x3a52, v54
	v_mul_f16_e32 v52, 0x2b26, v55
	v_add_f16_e32 v29, v29, v56
	v_mul_f16_e32 v53, 0xb846, v58
	v_add_f16_e32 v32, v32, v33
	v_mul_f16_e32 v33, 0x3b00, v39
	v_mul_f16_e32 v55, 0x3b00, v31
	v_add_f16_e32 v47, v47, v71
	v_add_f16_e32 v23, v23, v74
	v_add_f16_e32 v37, v37, v38
	v_mul_f16_e32 v38, 0x3a52, v51
	v_mul_f16_e32 v42, 0xb846, v42
	v_add_f16_e32 v43, v43, v44
	v_mul_f16_e32 v44, 0x3a52, v59
	v_mul_f16_e32 v56, 0x2b26, v60
	;; [unrolled: 1-line block ×4, first 2 shown]
	v_add_f16_e32 v25, v25, v27
	v_mul_f16_e32 v27, 0x3b00, v45
	v_fmamk_f16 v74, v49, 0x3574, v28
	v_add_f16_e32 v36, v36, v41
	v_add_f16_e32 v22, v22, v29
	v_fmamk_f16 v76, v57, 0x3574, v53
	v_fma_f16 v33, v49, 0xb574, -v33
	v_fma_f16 v49, v30, 0xb9e0, -v50
	;; [unrolled: 1-line block ×4, first 2 shown]
	v_add_f16_e32 v35, v35, v47
	v_add_f16_e32 v17, v17, v23
	v_mul_f16_e32 v58, 0x3a52, v72
	v_mul_f16_e32 v73, 0x3b00, v26
	v_fmamk_f16 v51, v51, 0x3a52, v48
	v_fmamk_f16 v54, v54, 0x3a52, v52
	v_fma_f16 v38, v40, 0xb9e0, -v38
	v_fma_f16 v40, v40, 0x39e0, -v48
	v_fma_f16 v28, v39, 0x3b00, -v28
	v_fma_f16 v30, v30, 0x39e0, -v52
	v_fmamk_f16 v39, v34, 0x3574, v42
	v_fmamk_f16 v48, v59, 0x3a52, v56
	;; [unrolled: 1-line block ×4, first 2 shown]
	v_fma_f16 v27, v34, 0xb574, -v27
	v_fma_f16 v34, v46, 0xb9e0, -v44
	v_fmamk_f16 v41, v41, 0xbcab, v36
	v_fmamk_f16 v29, v29, 0xbcab, v22
	v_fmac_f16_e32 v76, 0x370e, v32
	v_fmac_f16_e32 v50, 0x370e, v32
	;; [unrolled: 1-line block ×3, first 2 shown]
	v_fmamk_f16 v32, v47, 0xbcab, v35
	v_fmamk_f16 v23, v23, 0xbcab, v17
	v_fma_f16 v44, v24, 0xb9e0, -v58
	v_fma_f16 v55, v75, 0xb574, -v73
	;; [unrolled: 1-line block ×6, first 2 shown]
	v_fmac_f16_e32 v74, 0x370e, v37
	v_fmac_f16_e32 v33, 0x370e, v37
	;; [unrolled: 1-line block ×6, first 2 shown]
	v_pack_b32_f16 v17, v17, v35
	v_pack_b32_f16 v22, v22, v36
	v_add_f16_e32 v35, v54, v29
	v_add_f16_e32 v36, v38, v41
	;; [unrolled: 1-line block ×8, first 2 shown]
	v_fmac_f16_e32 v55, 0x370e, v25
	v_fmac_f16_e32 v26, 0x370e, v25
	v_add_f16_e32 v25, v51, v41
	v_add_f16_e32 v41, v44, v23
	v_fmac_f16_e32 v42, 0x370e, v43
	v_add_f16_e32 v32, v46, v32
	v_add_f16_e32 v23, v24, v23
	;; [unrolled: 1-line block ×3, first 2 shown]
	v_sub_f16_e32 v45, v38, v28
	v_add_f16_e32 v46, v31, v29
	v_add_f16_e32 v28, v28, v38
	v_sub_f16_e32 v29, v29, v31
	v_sub_f16_e32 v31, v36, v33
	v_add_f16_e32 v36, v39, v30
	v_add_f16_e32 v38, v27, v34
	v_sub_f16_e32 v27, v34, v27
	;; [unrolled: 4-line block ×3, first 2 shown]
	v_add_f16_e32 v33, v50, v37
	v_sub_f16_e32 v37, v40, v53
	v_sub_f16_e32 v47, v32, v42
	v_add_f16_e32 v32, v42, v32
	v_sub_f16_e32 v40, v23, v26
	v_add_f16_e32 v23, v26, v23
	v_sub_f16_e32 v26, v41, v55
	global_store_dword v[0:1], v17, off
	v_add_f16_e32 v17, v74, v25
	v_sub_f16_e32 v24, v35, v76
	v_sub_f16_e32 v25, v25, v74
	v_add_f16_e32 v35, v76, v35
	v_pack_b32_f16 v30, v34, v30
	v_pack_b32_f16 v27, v39, v27
	;; [unrolled: 1-line block ×12, first 2 shown]
	global_store_dword v[0:1], v30, off offset:1020
	global_store_dword v[0:1], v27, off offset:2040
	;; [unrolled: 1-line block ×13, first 2 shown]
	s_and_b32 exec_lo, exec_lo, s0
	s_cbranch_execz .LBB0_22
; %bb.21:
	v_subrev_nc_u32_e32 v6, 17, v6
	v_lshrrev_b32_e32 v17, 16, v2
	v_cndmask_b32_e64 v6, v6, v10, s0
	v_lshrrev_b32_e32 v10, 16, v3
	v_mul_i32_i24_e32 v6, 6, v6
	v_lshlrev_b64 v[6:7], 2, v[6:7]
	v_add_co_u32 v6, vcc_lo, s8, v6
	v_add_co_ci_u32_e32 v7, vcc_lo, s9, v7, vcc_lo
	v_add_co_u32 v26, vcc_lo, 0x1800, v0
	v_add_co_ci_u32_e32 v27, vcc_lo, 0, v1, vcc_lo
	s_clause 0x1
	global_load_dwordx4 v[22:25], v[6:7], off offset:952
	global_load_dwordx2 v[6:7], v[6:7], off offset:968
	s_waitcnt vmcnt(1)
	v_mul_f16_sdwa v28, v2, v22 dst_sel:DWORD dst_unused:UNUSED_PAD src0_sel:DWORD src1_sel:WORD_1
	v_mul_f16_sdwa v29, v3, v22 dst_sel:DWORD dst_unused:UNUSED_PAD src0_sel:DWORD src1_sel:WORD_1
	;; [unrolled: 1-line block ×4, first 2 shown]
	s_waitcnt vmcnt(0)
	v_mul_f16_sdwa v36, v18, v6 dst_sel:DWORD dst_unused:UNUSED_PAD src0_sel:DWORD src1_sel:WORD_1
	v_mul_f16_sdwa v37, v12, v6 dst_sel:DWORD dst_unused:UNUSED_PAD src0_sel:DWORD src1_sel:WORD_1
	;; [unrolled: 1-line block ×8, first 2 shown]
	v_fma_f16 v3, v3, v22, -v28
	v_fmac_f16_e32 v29, v2, v22
	v_fma_f16 v2, v10, v23, -v30
	v_fmac_f16_e32 v31, v17, v23
	;; [unrolled: 2-line block ×6, first 2 shown]
	v_add_f16_e32 v6, v3, v14
	v_add_f16_e32 v12, v29, v39
	;; [unrolled: 1-line block ×4, first 2 shown]
	v_sub_f16_e32 v3, v3, v14
	v_sub_f16_e32 v14, v29, v39
	;; [unrolled: 1-line block ×4, first 2 shown]
	v_add_f16_e32 v18, v10, v13
	v_add_f16_e32 v19, v33, v35
	v_sub_f16_e32 v10, v13, v10
	v_sub_f16_e32 v13, v35, v33
	v_add_f16_e32 v20, v15, v6
	v_add_f16_e32 v21, v17, v12
	v_sub_f16_e32 v22, v15, v6
	v_sub_f16_e32 v23, v17, v12
	;; [unrolled: 1-line block ×6, first 2 shown]
	v_add_f16_e32 v24, v10, v2
	v_add_f16_e32 v25, v13, v7
	v_sub_f16_e32 v28, v10, v2
	v_sub_f16_e32 v29, v13, v7
	;; [unrolled: 1-line block ×4, first 2 shown]
	v_add_f16_e32 v18, v18, v20
	v_add_f16_e32 v19, v19, v21
	v_sub_f16_e32 v10, v3, v10
	v_sub_f16_e32 v13, v14, v13
	v_add_f16_e32 v3, v24, v3
	v_add_f16_e32 v14, v25, v14
	v_mul_f16_e32 v6, 0x3a52, v6
	v_mul_f16_e32 v12, 0x3a52, v12
	;; [unrolled: 1-line block ×8, first 2 shown]
	v_add_f16_e32 v11, v11, v18
	v_add_f16_e32 v16, v16, v19
	v_fmamk_f16 v15, v15, 0x2b26, v6
	v_fmamk_f16 v17, v17, 0x2b26, v12
	v_fma_f16 v20, v22, 0x39e0, -v20
	v_fma_f16 v21, v23, 0x39e0, -v21
	;; [unrolled: 1-line block ×4, first 2 shown]
	v_fmamk_f16 v22, v10, 0x3574, v24
	v_fmamk_f16 v23, v13, 0x3574, v25
	v_fma_f16 v2, v2, 0x3b00, -v24
	v_fma_f16 v7, v7, 0x3b00, -v25
	;; [unrolled: 1-line block ×4, first 2 shown]
	v_fmamk_f16 v18, v18, 0xbcab, v11
	v_fmamk_f16 v19, v19, 0xbcab, v16
	v_fmac_f16_e32 v22, 0x370e, v3
	v_fmac_f16_e32 v23, 0x370e, v14
	;; [unrolled: 1-line block ×6, first 2 shown]
	v_pack_b32_f16 v3, v11, v16
	v_add_f16_e32 v11, v15, v18
	v_add_f16_e32 v14, v17, v19
	;; [unrolled: 1-line block ×6, first 2 shown]
	global_store_dword v[0:1], v3, off offset:952
	v_add_f16_e32 v3, v23, v11
	v_sub_f16_e32 v17, v14, v22
	v_add_f16_e32 v18, v13, v6
	v_sub_f16_e32 v19, v12, v10
	v_sub_f16_e32 v20, v15, v7
	v_add_f16_e32 v21, v2, v16
	v_add_f16_e32 v7, v7, v15
	v_sub_f16_e32 v2, v16, v2
	v_sub_f16_e32 v6, v6, v13
	v_add_f16_e32 v10, v10, v12
	v_sub_f16_e32 v11, v11, v23
	v_add_f16_e32 v12, v22, v14
	v_pack_b32_f16 v3, v3, v17
	v_pack_b32_f16 v13, v18, v19
	;; [unrolled: 1-line block ×6, first 2 shown]
	global_store_dword v[0:1], v3, off offset:1972
	global_store_dword v[4:5], v13, off offset:944
	;; [unrolled: 1-line block ×6, first 2 shown]
.LBB0_22:
	s_endpgm
	.section	.rodata,"a",@progbits
	.p2align	6, 0x0
	.amdhsa_kernel fft_rtc_fwd_len1785_factors_17_3_5_7_wgs_119_tpt_119_halfLds_half_op_CI_CI_unitstride_sbrr_dirReg
		.amdhsa_group_segment_fixed_size 0
		.amdhsa_private_segment_fixed_size 0
		.amdhsa_kernarg_size 104
		.amdhsa_user_sgpr_count 6
		.amdhsa_user_sgpr_private_segment_buffer 1
		.amdhsa_user_sgpr_dispatch_ptr 0
		.amdhsa_user_sgpr_queue_ptr 0
		.amdhsa_user_sgpr_kernarg_segment_ptr 1
		.amdhsa_user_sgpr_dispatch_id 0
		.amdhsa_user_sgpr_flat_scratch_init 0
		.amdhsa_user_sgpr_private_segment_size 0
		.amdhsa_wavefront_size32 1
		.amdhsa_uses_dynamic_stack 0
		.amdhsa_system_sgpr_private_segment_wavefront_offset 0
		.amdhsa_system_sgpr_workgroup_id_x 1
		.amdhsa_system_sgpr_workgroup_id_y 0
		.amdhsa_system_sgpr_workgroup_id_z 0
		.amdhsa_system_sgpr_workgroup_info 0
		.amdhsa_system_vgpr_workitem_id 0
		.amdhsa_next_free_vgpr 95
		.amdhsa_next_free_sgpr 27
		.amdhsa_reserve_vcc 1
		.amdhsa_reserve_flat_scratch 0
		.amdhsa_float_round_mode_32 0
		.amdhsa_float_round_mode_16_64 0
		.amdhsa_float_denorm_mode_32 3
		.amdhsa_float_denorm_mode_16_64 3
		.amdhsa_dx10_clamp 1
		.amdhsa_ieee_mode 1
		.amdhsa_fp16_overflow 0
		.amdhsa_workgroup_processor_mode 1
		.amdhsa_memory_ordered 1
		.amdhsa_forward_progress 0
		.amdhsa_shared_vgpr_count 0
		.amdhsa_exception_fp_ieee_invalid_op 0
		.amdhsa_exception_fp_denorm_src 0
		.amdhsa_exception_fp_ieee_div_zero 0
		.amdhsa_exception_fp_ieee_overflow 0
		.amdhsa_exception_fp_ieee_underflow 0
		.amdhsa_exception_fp_ieee_inexact 0
		.amdhsa_exception_int_div_zero 0
	.end_amdhsa_kernel
	.text
.Lfunc_end0:
	.size	fft_rtc_fwd_len1785_factors_17_3_5_7_wgs_119_tpt_119_halfLds_half_op_CI_CI_unitstride_sbrr_dirReg, .Lfunc_end0-fft_rtc_fwd_len1785_factors_17_3_5_7_wgs_119_tpt_119_halfLds_half_op_CI_CI_unitstride_sbrr_dirReg
                                        ; -- End function
	.section	.AMDGPU.csdata,"",@progbits
; Kernel info:
; codeLenInByte = 12744
; NumSgprs: 29
; NumVgprs: 95
; ScratchSize: 0
; MemoryBound: 0
; FloatMode: 240
; IeeeMode: 1
; LDSByteSize: 0 bytes/workgroup (compile time only)
; SGPRBlocks: 3
; VGPRBlocks: 11
; NumSGPRsForWavesPerEU: 29
; NumVGPRsForWavesPerEU: 95
; Occupancy: 10
; WaveLimiterHint : 1
; COMPUTE_PGM_RSRC2:SCRATCH_EN: 0
; COMPUTE_PGM_RSRC2:USER_SGPR: 6
; COMPUTE_PGM_RSRC2:TRAP_HANDLER: 0
; COMPUTE_PGM_RSRC2:TGID_X_EN: 1
; COMPUTE_PGM_RSRC2:TGID_Y_EN: 0
; COMPUTE_PGM_RSRC2:TGID_Z_EN: 0
; COMPUTE_PGM_RSRC2:TIDIG_COMP_CNT: 0
	.text
	.p2alignl 6, 3214868480
	.fill 48, 4, 3214868480
	.type	__hip_cuid_7af72bffa4d1add0,@object ; @__hip_cuid_7af72bffa4d1add0
	.section	.bss,"aw",@nobits
	.globl	__hip_cuid_7af72bffa4d1add0
__hip_cuid_7af72bffa4d1add0:
	.byte	0                               ; 0x0
	.size	__hip_cuid_7af72bffa4d1add0, 1

	.ident	"AMD clang version 19.0.0git (https://github.com/RadeonOpenCompute/llvm-project roc-6.4.0 25133 c7fe45cf4b819c5991fe208aaa96edf142730f1d)"
	.section	".note.GNU-stack","",@progbits
	.addrsig
	.addrsig_sym __hip_cuid_7af72bffa4d1add0
	.amdgpu_metadata
---
amdhsa.kernels:
  - .args:
      - .actual_access:  read_only
        .address_space:  global
        .offset:         0
        .size:           8
        .value_kind:     global_buffer
      - .offset:         8
        .size:           8
        .value_kind:     by_value
      - .actual_access:  read_only
        .address_space:  global
        .offset:         16
        .size:           8
        .value_kind:     global_buffer
      - .actual_access:  read_only
        .address_space:  global
        .offset:         24
        .size:           8
        .value_kind:     global_buffer
      - .actual_access:  read_only
        .address_space:  global
        .offset:         32
        .size:           8
        .value_kind:     global_buffer
      - .offset:         40
        .size:           8
        .value_kind:     by_value
      - .actual_access:  read_only
        .address_space:  global
        .offset:         48
        .size:           8
        .value_kind:     global_buffer
      - .actual_access:  read_only
        .address_space:  global
        .offset:         56
        .size:           8
        .value_kind:     global_buffer
      - .offset:         64
        .size:           4
        .value_kind:     by_value
      - .actual_access:  read_only
        .address_space:  global
        .offset:         72
        .size:           8
        .value_kind:     global_buffer
      - .actual_access:  read_only
        .address_space:  global
        .offset:         80
        .size:           8
        .value_kind:     global_buffer
      - .actual_access:  read_only
        .address_space:  global
        .offset:         88
        .size:           8
        .value_kind:     global_buffer
      - .actual_access:  write_only
        .address_space:  global
        .offset:         96
        .size:           8
        .value_kind:     global_buffer
    .group_segment_fixed_size: 0
    .kernarg_segment_align: 8
    .kernarg_segment_size: 104
    .language:       OpenCL C
    .language_version:
      - 2
      - 0
    .max_flat_workgroup_size: 119
    .name:           fft_rtc_fwd_len1785_factors_17_3_5_7_wgs_119_tpt_119_halfLds_half_op_CI_CI_unitstride_sbrr_dirReg
    .private_segment_fixed_size: 0
    .sgpr_count:     29
    .sgpr_spill_count: 0
    .symbol:         fft_rtc_fwd_len1785_factors_17_3_5_7_wgs_119_tpt_119_halfLds_half_op_CI_CI_unitstride_sbrr_dirReg.kd
    .uniform_work_group_size: 1
    .uses_dynamic_stack: false
    .vgpr_count:     95
    .vgpr_spill_count: 0
    .wavefront_size: 32
    .workgroup_processor_mode: 1
amdhsa.target:   amdgcn-amd-amdhsa--gfx1030
amdhsa.version:
  - 1
  - 2
...

	.end_amdgpu_metadata
